;; amdgpu-corpus repo=ROCm/rocFFT kind=compiled arch=gfx906 opt=O3
	.text
	.amdgcn_target "amdgcn-amd-amdhsa--gfx906"
	.amdhsa_code_object_version 6
	.protected	bluestein_single_back_len312_dim1_dp_op_CI_CI ; -- Begin function bluestein_single_back_len312_dim1_dp_op_CI_CI
	.globl	bluestein_single_back_len312_dim1_dp_op_CI_CI
	.p2align	8
	.type	bluestein_single_back_len312_dim1_dp_op_CI_CI,@function
bluestein_single_back_len312_dim1_dp_op_CI_CI: ; @bluestein_single_back_len312_dim1_dp_op_CI_CI
; %bb.0:
	s_mov_b64 s[50:51], s[2:3]
	s_mov_b64 s[48:49], s[0:1]
	s_load_dwordx4 s[0:3], s[4:5], 0x28
	v_mul_u32_u24_e32 v1, 0x9d9, v0
	v_lshrrev_b32_e32 v1, 16, v1
	v_lshl_add_u32 v140, s6, 1, v1
	v_mov_b32_e32 v141, 0
	s_add_u32 s48, s48, s7
	s_waitcnt lgkmcnt(0)
	v_cmp_gt_u64_e32 vcc, s[0:1], v[140:141]
	s_addc_u32 s49, s49, 0
	s_and_saveexec_b64 s[0:1], vcc
	s_cbranch_execz .LBB0_15
; %bb.1:
	s_load_dwordx2 s[12:13], s[4:5], 0x0
	s_load_dwordx2 s[14:15], s[4:5], 0x38
	v_mul_lo_u16_e32 v2, 26, v1
	v_sub_u16_e32 v189, v0, v2
	v_and_b32_e32 v0, 1, v1
	v_mov_b32_e32 v1, 0x138
	v_cmp_eq_u32_e32 vcc, 1, v0
	v_cndmask_b32_e32 v192, 0, v1, vcc
	v_cmp_gt_u16_e32 vcc, 24, v189
	v_lshlrev_b32_e32 v190, 4, v189
	v_lshlrev_b32_e32 v193, 4, v192
	s_and_saveexec_b64 s[6:7], vcc
	s_cbranch_execz .LBB0_3
; %bb.2:
	s_load_dwordx2 s[0:1], s[4:5], 0x18
	v_mov_b32_e32 v70, 0x300
	v_or_b32_e32 v55, 0xc0, v189
	v_or_b32_e32 v101, 0x120, v189
	s_waitcnt lgkmcnt(0)
	s_load_dwordx4 s[8:11], s[0:1], 0x0
	s_waitcnt lgkmcnt(0)
	v_mad_u64_u32 v[0:1], s[0:1], s10, v140, 0
	v_mad_u64_u32 v[2:3], s[0:1], s8, v189, 0
	s_mul_i32 s10, s9, 0x300
	v_mad_u64_u32 v[4:5], s[0:1], s11, v140, v[1:2]
	v_mad_u64_u32 v[5:6], s[0:1], s9, v189, v[3:4]
	v_mov_b32_e32 v1, v4
	v_lshlrev_b64 v[0:1], 4, v[0:1]
	v_mov_b32_e32 v3, v5
	v_mov_b32_e32 v6, s3
	v_lshlrev_b64 v[2:3], 4, v[2:3]
	v_add_co_u32_e64 v99, s[0:1], s2, v0
	v_addc_co_u32_e64 v100, s[0:1], v6, v1, s[0:1]
	v_add_co_u32_e64 v16, s[0:1], v99, v2
	v_addc_co_u32_e64 v17, s[0:1], v100, v3, s[0:1]
	v_mov_b32_e32 v0, s13
	v_add_co_u32_e64 v93, s[0:1], s12, v190
	v_addc_co_u32_e64 v94, s[0:1], 0, v0, s[0:1]
	s_mul_i32 s0, s9, 0x180
	s_mul_hi_u32 s3, s8, 0x180
	s_add_i32 s3, s3, s0
	s_mul_i32 s2, s8, 0x180
	v_mov_b32_e32 v0, s3
	v_add_co_u32_e64 v18, s[0:1], s2, v16
	v_addc_co_u32_e64 v19, s[0:1], v17, v0, s[0:1]
	global_load_dwordx4 v[0:3], v[16:17], off
	global_load_dwordx4 v[4:7], v[18:19], off
	global_load_dwordx4 v[8:11], v190, s[12:13]
	global_load_dwordx4 v[12:15], v190, s[12:13] offset:384
	v_mov_b32_e32 v16, s3
	v_add_co_u32_e64 v32, s[0:1], s2, v18
	v_or_b32_e32 v17, 0x60, v189
	v_addc_co_u32_e64 v33, s[0:1], v19, v16, s[0:1]
	v_mad_u64_u32 v[34:35], s[0:1], s8, v17, 0
	v_add_co_u32_e64 v36, s[0:1], s2, v32
	v_addc_co_u32_e64 v37, s[0:1], v33, v16, s[0:1]
	v_mov_b32_e32 v16, v35
	v_mad_u64_u32 v[38:39], s[0:1], s9, v17, v[16:17]
	global_load_dwordx4 v[16:19], v[32:33], off
	global_load_dwordx4 v[20:23], v[36:37], off
	global_load_dwordx4 v[24:27], v190, s[12:13] offset:768
	global_load_dwordx4 v[28:31], v190, s[12:13] offset:1152
	v_mad_u64_u32 v[48:49], s[0:1], s8, v70, v[36:37]
	v_mov_b32_e32 v35, v38
	v_lshlrev_b64 v[32:33], 4, v[34:35]
	v_add_u32_e32 v49, s10, v49
	v_add_co_u32_e64 v32, s[0:1], v99, v32
	v_addc_co_u32_e64 v33, s[0:1], v100, v33, s[0:1]
	v_mov_b32_e32 v50, s3
	v_add_co_u32_e64 v52, s[0:1], s2, v48
	v_addc_co_u32_e64 v53, s[0:1], v49, v50, s[0:1]
	v_mad_u64_u32 v[64:65], s[0:1], s8, v55, 0
	global_load_dwordx4 v[32:35], v[32:33], off
	s_nop 0
	global_load_dwordx4 v[36:39], v[48:49], off
	global_load_dwordx4 v[40:43], v190, s[12:13] offset:1536
	global_load_dwordx4 v[44:47], v190, s[12:13] offset:1920
	v_mov_b32_e32 v54, s3
	global_load_dwordx4 v[48:51], v[52:53], off
	v_add_co_u32_e64 v66, s[0:1], s2, v52
	v_mov_b32_e32 v52, v65
	v_addc_co_u32_e64 v67, s[0:1], v53, v54, s[0:1]
	v_mad_u64_u32 v[68:69], s[0:1], s9, v55, v[52:53]
	v_mad_u64_u32 v[80:81], s[0:1], s8, v70, v[66:67]
	v_mov_b32_e32 v65, v68
	v_lshlrev_b64 v[64:65], 4, v[64:65]
	v_add_u32_e32 v81, s10, v81
	v_add_co_u32_e64 v64, s[0:1], v99, v64
	v_addc_co_u32_e64 v65, s[0:1], v100, v65, s[0:1]
	v_mov_b32_e32 v82, s3
	v_add_co_u32_e64 v88, s[0:1], s2, v80
	v_addc_co_u32_e64 v89, s[0:1], v81, v82, s[0:1]
	v_mad_u64_u32 v[96:97], s[0:1], s8, v101, 0
	global_load_dwordx4 v[52:55], v[66:67], off
	global_load_dwordx4 v[56:59], v190, s[12:13] offset:2304
	global_load_dwordx4 v[60:63], v190, s[12:13] offset:2688
	v_mov_b32_e32 v90, s3
	global_load_dwordx4 v[64:67], v[64:65], off
	s_nop 0
	global_load_dwordx4 v[68:71], v[80:81], off
	global_load_dwordx4 v[72:75], v190, s[12:13] offset:3072
	global_load_dwordx4 v[76:79], v190, s[12:13] offset:3456
	s_nop 0
	global_load_dwordx4 v[80:83], v[88:89], off
	global_load_dwordx4 v[84:87], v190, s[12:13] offset:3840
	v_add_co_u32_e64 v88, s[0:1], s2, v88
	v_mov_b32_e32 v92, v97
	v_addc_co_u32_e64 v89, s[0:1], v89, v90, s[0:1]
	v_mad_u64_u32 v[97:98], s[0:1], s9, v101, v[92:93]
	s_movk_i32 s2, 0x1000
	v_add_co_u32_e64 v92, s[0:1], s2, v93
	v_lshlrev_b64 v[96:97], 4, v[96:97]
	v_addc_co_u32_e64 v93, s[0:1], 0, v94, s[0:1]
	v_add_co_u32_e64 v96, s[0:1], v99, v96
	global_load_dwordx4 v[88:91], v[88:89], off
	v_addc_co_u32_e64 v97, s[0:1], v100, v97, s[0:1]
	global_load_dwordx4 v[92:95], v[92:93], off offset:128
	v_lshlrev_b32_e32 v100, 4, v101
	global_load_dwordx4 v[96:99], v[96:97], off
	s_waitcnt vmcnt(22)
	v_mul_f64 v[104:105], v[2:3], v[10:11]
	global_load_dwordx4 v[100:103], v100, s[12:13]
	v_mul_f64 v[10:11], v[0:1], v[10:11]
	v_fma_f64 v[0:1], v[0:1], v[8:9], v[104:105]
	v_fma_f64 v[2:3], v[2:3], v[8:9], -v[10:11]
	s_waitcnt vmcnt(22)
	v_mul_f64 v[8:9], v[6:7], v[14:15]
	v_mul_f64 v[10:11], v[4:5], v[14:15]
	s_waitcnt vmcnt(19)
	v_mul_f64 v[14:15], v[18:19], v[26:27]
	v_mul_f64 v[26:27], v[16:17], v[26:27]
	;; [unrolled: 3-line block ×3, first 2 shown]
	v_fma_f64 v[4:5], v[4:5], v[12:13], v[8:9]
	v_fma_f64 v[6:7], v[6:7], v[12:13], -v[10:11]
	v_fma_f64 v[8:9], v[16:17], v[24:25], v[14:15]
	v_fma_f64 v[10:11], v[18:19], v[24:25], -v[26:27]
	;; [unrolled: 2-line block ×3, first 2 shown]
	v_lshl_add_u32 v20, v189, 4, v193
	ds_write_b128 v20, v[0:3]
	s_waitcnt vmcnt(15)
	v_mul_f64 v[106:107], v[34:35], v[42:43]
	v_mul_f64 v[42:43], v[32:33], v[42:43]
	s_waitcnt vmcnt(14)
	v_mul_f64 v[0:1], v[38:39], v[46:47]
	v_mul_f64 v[2:3], v[36:37], v[46:47]
	v_fma_f64 v[16:17], v[32:33], v[40:41], v[106:107]
	v_fma_f64 v[18:19], v[34:35], v[40:41], -v[42:43]
	v_add_u32_e32 v32, v193, v190
	ds_write_b128 v32, v[4:7] offset:384
	ds_write_b128 v32, v[8:11] offset:768
	;; [unrolled: 1-line block ×4, first 2 shown]
	v_fma_f64 v[0:1], v[36:37], v[44:45], v[0:1]
	v_fma_f64 v[2:3], v[38:39], v[44:45], -v[2:3]
	s_waitcnt vmcnt(11)
	v_mul_f64 v[4:5], v[50:51], v[58:59]
	v_mul_f64 v[6:7], v[48:49], v[58:59]
	s_waitcnt vmcnt(10)
	v_mul_f64 v[8:9], v[54:55], v[62:63]
	v_mul_f64 v[10:11], v[52:53], v[62:63]
	;; [unrolled: 3-line block ×5, first 2 shown]
	v_fma_f64 v[4:5], v[48:49], v[56:57], v[4:5]
	v_fma_f64 v[6:7], v[50:51], v[56:57], -v[6:7]
	v_fma_f64 v[8:9], v[52:53], v[60:61], v[8:9]
	v_fma_f64 v[10:11], v[54:55], v[60:61], -v[10:11]
	;; [unrolled: 2-line block ×5, first 2 shown]
	s_waitcnt vmcnt(2)
	v_mul_f64 v[24:25], v[90:91], v[94:95]
	v_mul_f64 v[26:27], v[88:89], v[94:95]
	s_waitcnt vmcnt(0)
	v_mul_f64 v[28:29], v[98:99], v[102:103]
	v_mul_f64 v[30:31], v[96:97], v[102:103]
	v_fma_f64 v[24:25], v[88:89], v[92:93], v[24:25]
	v_fma_f64 v[26:27], v[90:91], v[92:93], -v[26:27]
	v_fma_f64 v[28:29], v[96:97], v[100:101], v[28:29]
	v_fma_f64 v[30:31], v[98:99], v[100:101], -v[30:31]
	ds_write_b128 v32, v[0:3] offset:1920
	ds_write_b128 v32, v[4:7] offset:2304
	;; [unrolled: 1-line block ×8, first 2 shown]
.LBB0_3:
	s_or_b64 exec, exec, s[6:7]
	s_load_dwordx2 s[0:1], s[4:5], 0x20
	s_load_dwordx2 s[2:3], s[4:5], 0x8
	s_waitcnt lgkmcnt(0)
	; wave barrier
	s_waitcnt lgkmcnt(0)
                                        ; implicit-def: $vgpr4_vgpr5
                                        ; implicit-def: $vgpr8_vgpr9
                                        ; implicit-def: $vgpr12_vgpr13
                                        ; implicit-def: $vgpr20_vgpr21
                                        ; implicit-def: $vgpr28_vgpr29
                                        ; implicit-def: $vgpr44_vgpr45
                                        ; implicit-def: $vgpr52_vgpr53
                                        ; implicit-def: $vgpr48_vgpr49
                                        ; implicit-def: $vgpr40_vgpr41
                                        ; implicit-def: $vgpr36_vgpr37
                                        ; implicit-def: $vgpr32_vgpr33
                                        ; implicit-def: $vgpr24_vgpr25
                                        ; implicit-def: $vgpr16_vgpr17
	s_and_saveexec_b64 s[4:5], vcc
	s_cbranch_execz .LBB0_5
; %bb.4:
	v_lshl_add_u32 v0, v192, 4, v190
	ds_read_b128 v[4:7], v0
	ds_read_b128 v[16:19], v0 offset:384
	ds_read_b128 v[24:27], v0 offset:768
	;; [unrolled: 1-line block ×12, first 2 shown]
.LBB0_5:
	s_or_b64 exec, exec, s[4:5]
	s_waitcnt lgkmcnt(0)
	v_add_f64 v[106:107], v[18:19], -v[54:55]
	v_add_f64 v[100:101], v[16:17], -v[52:53]
	s_mov_b32 s24, 0x4267c47c
	s_mov_b32 s25, 0xbfddbe06
	v_add_f64 v[64:65], v[52:53], v[16:17]
	v_add_f64 v[120:121], v[54:55], v[18:19]
	v_add_f64 v[84:85], v[26:27], -v[46:47]
	v_add_f64 v[82:83], v[24:25], -v[44:45]
	v_mul_f64 v[66:67], v[106:107], s[24:25]
	v_mul_f64 v[68:69], v[100:101], s[24:25]
	s_mov_b32 s4, 0xe00740e9
	s_mov_b32 s20, 0x42a4c3d2
	;; [unrolled: 1-line block ×4, first 2 shown]
	v_add_f64 v[70:71], v[44:45], v[24:25]
	v_add_f64 v[122:123], v[46:47], v[26:27]
	v_fma_f64 v[0:1], v[64:65], s[4:5], v[66:67]
	v_fma_f64 v[2:3], v[120:121], s[4:5], -v[68:69]
	v_mul_f64 v[72:73], v[84:85], s[20:21]
	v_mul_f64 v[74:75], v[82:83], s[20:21]
	v_add_f64 v[94:95], v[10:11], -v[50:51]
	v_add_f64 v[90:91], v[8:9], -v[48:49]
	s_mov_b32 s6, 0x1ea71119
	s_mov_b32 s28, 0x66966769
	;; [unrolled: 1-line block ×4, first 2 shown]
	v_add_f64 v[0:1], v[4:5], v[0:1]
	v_add_f64 v[2:3], v[6:7], v[2:3]
	v_fma_f64 v[56:57], v[70:71], s[6:7], v[72:73]
	v_fma_f64 v[58:59], v[122:123], s[6:7], -v[74:75]
	v_add_f64 v[76:77], v[8:9], v[48:49]
	v_add_f64 v[128:129], v[10:11], v[50:51]
	v_mul_f64 v[78:79], v[94:95], s[28:29]
	v_mul_f64 v[80:81], v[90:91], s[28:29]
	v_add_f64 v[98:99], v[14:15], -v[42:43]
	v_add_f64 v[96:97], v[12:13], -v[40:41]
	s_mov_b32 s8, 0xebaa3ed8
	s_mov_b32 s18, 0x2ef20147
	;; [unrolled: 1-line block ×4, first 2 shown]
	v_add_f64 v[0:1], v[56:57], v[0:1]
	v_add_f64 v[2:3], v[58:59], v[2:3]
	v_fma_f64 v[56:57], v[76:77], s[8:9], v[78:79]
	v_add_f64 v[86:87], v[12:13], v[40:41]
	v_mul_f64 v[88:89], v[98:99], s[18:19]
	v_fma_f64 v[58:59], v[128:129], s[8:9], -v[80:81]
	v_add_f64 v[153:154], v[14:15], v[42:43]
	v_mul_f64 v[92:93], v[96:97], s[18:19]
	v_add_f64 v[110:111], v[34:35], -v[30:31]
	v_add_f64 v[116:117], v[32:33], -v[28:29]
	s_mov_b32 s16, 0xb2365da1
	s_mov_b32 s34, 0x24c2f84
	;; [unrolled: 1-line block ×4, first 2 shown]
	v_add_f64 v[0:1], v[56:57], v[0:1]
	v_fma_f64 v[56:57], v[86:87], s[16:17], v[88:89]
	v_add_f64 v[104:105], v[28:29], v[32:33]
	v_mul_f64 v[102:103], v[110:111], s[34:35]
	v_add_f64 v[2:3], v[58:59], v[2:3]
	v_fma_f64 v[58:59], v[153:154], s[16:17], -v[92:93]
	v_add_f64 v[155:156], v[30:31], v[34:35]
	v_mul_f64 v[108:109], v[116:117], s[34:35]
	v_add_f64 v[124:125], v[38:39], -v[22:23]
	v_add_f64 v[126:127], v[36:37], -v[20:21]
	s_mov_b32 s22, 0xd0032e0c
	s_mov_b32 s30, 0x4bc48dbf
	;; [unrolled: 1-line block ×4, first 2 shown]
	v_add_f64 v[0:1], v[56:57], v[0:1]
	v_fma_f64 v[56:57], v[104:105], s[22:23], v[102:103]
	v_add_f64 v[2:3], v[58:59], v[2:3]
	v_fma_f64 v[58:59], v[155:156], s[22:23], -v[108:109]
	v_add_f64 v[112:113], v[20:21], v[36:37]
	v_mul_f64 v[114:115], v[124:125], s[30:31]
	v_add_f64 v[159:160], v[22:23], v[38:39]
	v_mul_f64 v[118:119], v[126:127], s[30:31]
	s_mov_b32 s26, 0x93053d00
	s_mov_b32 s27, 0xbfef11f4
	v_add_f64 v[0:1], v[56:57], v[0:1]
	v_add_f64 v[2:3], v[58:59], v[2:3]
	v_mul_lo_u16_e32 v191, 13, v189
	v_fma_f64 v[56:57], v[112:113], s[26:27], v[114:115]
	v_fma_f64 v[58:59], v[159:160], s[26:27], -v[118:119]
	; wave barrier
	v_add_f64 v[0:1], v[56:57], v[0:1]
	v_add_f64 v[2:3], v[58:59], v[2:3]
	s_and_saveexec_b64 s[10:11], vcc
	s_cbranch_execz .LBB0_7
; %bb.6:
	v_mul_f64 v[56:57], v[120:121], s[26:27]
	s_mov_b32 s39, 0x3fcea1e5
	s_mov_b32 s38, s30
	v_mul_f64 v[58:59], v[122:123], s[4:5]
	v_mul_f64 v[62:63], v[128:129], s[22:23]
	s_mov_b32 s37, 0x3fe5384d
	s_mov_b32 s36, s34
	v_mul_f64 v[163:164], v[153:154], s[6:7]
	v_fma_f64 v[60:61], v[100:101], s[38:39], v[56:57]
	v_mul_f64 v[167:168], v[106:107], s[30:31]
	s_mov_b32 s41, 0x3fddbe06
	v_fma_f64 v[157:158], v[82:83], s[24:25], v[58:59]
	v_fma_f64 v[165:166], v[90:91], s[36:37], v[62:63]
	s_mov_b32 s40, s24
	v_fma_f64 v[56:57], v[100:101], s[30:31], v[56:57]
	v_fma_f64 v[169:170], v[96:97], s[20:21], v[163:164]
	v_add_f64 v[60:61], v[6:7], v[60:61]
	v_fma_f64 v[171:172], v[64:65], s[26:27], v[167:168]
	v_mul_f64 v[173:174], v[94:95], s[34:35]
	v_fma_f64 v[167:168], v[64:65], s[26:27], -v[167:168]
	v_fma_f64 v[58:59], v[82:83], s[40:41], v[58:59]
	s_mov_b32 s47, 0x3fea55e2
	v_add_f64 v[56:57], v[6:7], v[56:57]
	s_mov_b32 s46, s20
	v_add_f64 v[60:61], v[157:158], v[60:61]
	v_add_f64 v[171:172], v[4:5], v[171:172]
	v_mul_f64 v[177:178], v[98:99], s[46:47]
	v_add_f64 v[167:168], v[4:5], v[167:168]
	v_fma_f64 v[179:180], v[76:77], s[22:23], v[173:174]
	v_fma_f64 v[62:63], v[90:91], s[34:35], v[62:63]
	v_add_f64 v[56:57], v[58:59], v[56:57]
	v_mul_f64 v[157:158], v[155:156], s[16:17]
	v_add_f64 v[60:61], v[165:166], v[60:61]
	v_mul_f64 v[165:166], v[84:85], s[40:41]
	v_mul_f64 v[58:59], v[110:111], s[18:19]
	v_fma_f64 v[163:164], v[96:97], s[46:47], v[163:164]
	s_mov_b32 s45, 0x3fedeba7
	s_mov_b32 s44, s18
	v_add_f64 v[56:57], v[62:63], v[56:57]
	v_mul_f64 v[161:162], v[159:160], s[8:9]
	v_add_f64 v[60:61], v[169:170], v[60:61]
	v_fma_f64 v[169:170], v[70:71], s[4:5], v[165:166]
	v_fma_f64 v[165:166], v[70:71], s[4:5], -v[165:166]
	v_fma_f64 v[175:176], v[116:117], s[44:45], v[157:158]
	v_fma_f64 v[157:158], v[116:117], s[18:19], v[157:158]
	s_mov_b32 s43, 0x3fefc445
	v_add_f64 v[56:57], v[163:164], v[56:57]
	s_mov_b32 s42, s28
	v_mul_f64 v[62:63], v[124:125], s[42:43]
	v_add_f64 v[169:170], v[169:170], v[171:172]
	v_fma_f64 v[171:172], v[76:77], s[22:23], -v[173:174]
	v_add_f64 v[165:166], v[165:166], v[167:168]
	v_fma_f64 v[167:168], v[86:87], s[6:7], v[177:178]
	v_fma_f64 v[173:174], v[86:87], s[6:7], -v[177:178]
	v_fma_f64 v[163:164], v[126:127], s[28:29], v[161:162]
	v_fma_f64 v[161:162], v[126:127], s[42:43], v[161:162]
	v_add_f64 v[60:61], v[175:176], v[60:61]
	v_add_f64 v[169:170], v[179:180], v[169:170]
	v_fma_f64 v[175:176], v[112:113], s[8:9], -v[62:63]
	v_add_f64 v[165:166], v[171:172], v[165:166]
	v_fma_f64 v[171:172], v[104:105], s[16:17], v[58:59]
	v_fma_f64 v[58:59], v[104:105], s[16:17], -v[58:59]
	v_mul_f64 v[177:178], v[84:85], s[42:43]
	v_mul_f64 v[187:188], v[94:95], s[20:21]
	;; [unrolled: 1-line block ×3, first 2 shown]
	v_add_f64 v[167:168], v[167:168], v[169:170]
	v_fma_f64 v[169:170], v[112:113], s[8:9], v[62:63]
	v_add_f64 v[165:166], v[173:174], v[165:166]
	v_mul_f64 v[173:174], v[120:121], s[22:23]
	v_mul_f64 v[196:197], v[98:99], s[38:39]
	v_fma_f64 v[194:195], v[70:71], s[8:9], v[177:178]
	v_fma_f64 v[198:199], v[76:77], s[6:7], v[187:188]
	v_fma_f64 v[177:178], v[70:71], s[8:9], -v[177:178]
	v_add_f64 v[167:168], v[171:172], v[167:168]
	v_add_f64 v[171:172], v[157:158], v[56:57]
	;; [unrolled: 1-line block ×4, first 2 shown]
	v_mul_f64 v[163:164], v[122:123], s[8:9]
	v_mul_f64 v[204:205], v[98:99], s[28:29]
	v_add_f64 v[18:19], v[6:7], v[18:19]
	v_add_f64 v[16:17], v[4:5], v[16:17]
	;; [unrolled: 1-line block ×4, first 2 shown]
	v_mul_f64 v[161:162], v[106:107], s[34:35]
	v_fma_f64 v[167:168], v[100:101], s[36:37], v[173:174]
	v_add_f64 v[60:61], v[175:176], v[165:166]
	v_mul_f64 v[171:172], v[128:129], s[6:7]
	v_fma_f64 v[175:176], v[82:83], s[28:29], v[163:164]
	v_fma_f64 v[173:174], v[100:101], s[34:35], v[173:174]
	;; [unrolled: 1-line block ×3, first 2 shown]
	v_mul_f64 v[169:170], v[155:156], s[4:5]
	v_fma_f64 v[179:180], v[64:65], s[22:23], v[161:162]
	v_add_f64 v[167:168], v[6:7], v[167:168]
	v_fma_f64 v[161:162], v[64:65], s[22:23], -v[161:162]
	v_fma_f64 v[185:186], v[90:91], s[46:47], v[171:172]
	v_fma_f64 v[171:172], v[90:91], s[20:21], v[171:172]
	v_add_f64 v[173:174], v[6:7], v[173:174]
	v_mul_f64 v[165:166], v[159:160], s[16:17]
	v_fma_f64 v[181:182], v[116:117], s[24:25], v[169:170]
	v_add_f64 v[179:180], v[4:5], v[179:180]
	v_add_f64 v[167:168], v[175:176], v[167:168]
	v_fma_f64 v[175:176], v[96:97], s[30:31], v[183:184]
	v_add_f64 v[161:162], v[4:5], v[161:162]
	v_fma_f64 v[169:170], v[116:117], s[40:41], v[169:170]
	v_add_f64 v[163:164], v[163:164], v[173:174]
	v_mul_f64 v[173:174], v[110:111], s[40:41]
	v_add_f64 v[18:19], v[26:27], v[18:19]
	v_add_f64 v[179:180], v[194:195], v[179:180]
	;; [unrolled: 1-line block ×3, first 2 shown]
	v_fma_f64 v[185:186], v[86:87], s[26:27], v[196:197]
	v_add_f64 v[161:162], v[177:178], v[161:162]
	v_mul_f64 v[194:195], v[153:154], s[8:9]
	v_add_f64 v[163:164], v[171:172], v[163:164]
	v_mul_f64 v[171:172], v[124:125], s[18:19]
	v_fma_f64 v[177:178], v[104:105], s[4:5], v[173:174]
	v_add_f64 v[179:180], v[198:199], v[179:180]
	v_add_f64 v[167:168], v[175:176], v[167:168]
	v_fma_f64 v[175:176], v[96:97], s[38:39], v[183:184]
	v_fma_f64 v[183:184], v[76:77], s[6:7], -v[187:188]
	v_fma_f64 v[173:174], v[104:105], s[4:5], -v[173:174]
	v_mul_f64 v[198:199], v[94:95], s[40:41]
	v_fma_f64 v[202:203], v[96:97], s[42:43], v[194:195]
	v_mul_f64 v[187:188], v[159:160], s[6:7]
	v_add_f64 v[179:180], v[185:186], v[179:180]
	v_add_f64 v[167:168], v[181:182], v[167:168]
	;; [unrolled: 1-line block ×3, first 2 shown]
	v_fma_f64 v[175:176], v[86:87], s[26:27], -v[196:197]
	v_add_f64 v[161:162], v[183:184], v[161:162]
	v_fma_f64 v[181:182], v[112:113], s[16:17], v[171:172]
	v_fma_f64 v[185:186], v[126:127], s[44:45], v[165:166]
	;; [unrolled: 1-line block ×3, first 2 shown]
	v_add_f64 v[177:178], v[177:178], v[179:180]
	v_mul_f64 v[179:180], v[120:121], s[16:17]
	v_add_f64 v[169:170], v[169:170], v[163:164]
	v_mul_f64 v[183:184], v[122:123], s[22:23]
	v_add_f64 v[175:176], v[175:176], v[161:162]
	v_fma_f64 v[206:207], v[76:77], s[4:5], v[198:199]
	v_add_f64 v[163:164], v[185:186], v[167:168]
	v_fma_f64 v[194:195], v[96:97], s[28:29], v[194:195]
	v_add_f64 v[161:162], v[181:182], v[177:178]
	v_mul_f64 v[177:178], v[106:107], s[18:19]
	v_fma_f64 v[181:182], v[100:101], s[44:45], v[179:180]
	v_add_f64 v[167:168], v[165:166], v[169:170]
	v_fma_f64 v[165:166], v[112:113], s[16:17], -v[171:172]
	v_add_f64 v[171:172], v[173:174], v[175:176]
	v_mul_f64 v[175:176], v[84:85], s[36:37]
	v_mul_f64 v[169:170], v[128:129], s[4:5]
	v_fma_f64 v[173:174], v[82:83], s[34:35], v[183:184]
	v_fma_f64 v[185:186], v[64:65], s[16:17], v[177:178]
	v_add_f64 v[181:182], v[6:7], v[181:182]
	v_fma_f64 v[179:180], v[100:101], s[18:19], v[179:180]
	v_fma_f64 v[183:184], v[82:83], s[36:37], v[183:184]
	v_fma_f64 v[177:178], v[64:65], s[16:17], -v[177:178]
	v_fma_f64 v[200:201], v[70:71], s[22:23], v[175:176]
	v_fma_f64 v[196:197], v[90:91], s[24:25], v[169:170]
	;; [unrolled: 1-line block ×3, first 2 shown]
	v_add_f64 v[185:186], v[4:5], v[185:186]
	v_add_f64 v[173:174], v[173:174], v[181:182]
	;; [unrolled: 1-line block ×3, first 2 shown]
	v_mul_f64 v[181:182], v[155:156], s[26:27]
	v_fma_f64 v[175:176], v[70:71], s[22:23], -v[175:176]
	v_add_f64 v[177:178], v[4:5], v[177:178]
	v_fma_f64 v[198:199], v[76:77], s[4:5], -v[198:199]
	v_add_f64 v[165:166], v[165:166], v[171:172]
	v_add_f64 v[185:186], v[200:201], v[185:186]
	;; [unrolled: 1-line block ×4, first 2 shown]
	v_mul_f64 v[183:184], v[110:111], s[38:39]
	v_fma_f64 v[200:201], v[86:87], s[8:9], v[204:205]
	v_fma_f64 v[196:197], v[116:117], s[30:31], v[181:182]
	;; [unrolled: 1-line block ×3, first 2 shown]
	v_add_f64 v[175:176], v[175:176], v[177:178]
	v_add_f64 v[185:186], v[206:207], v[185:186]
	;; [unrolled: 1-line block ×4, first 2 shown]
	v_mul_f64 v[179:180], v[124:125], s[46:47]
	v_fma_f64 v[202:203], v[104:105], s[26:27], v[183:184]
	v_add_f64 v[16:17], v[24:25], v[16:17]
	v_add_f64 v[10:11], v[10:11], v[18:19]
	v_add_f64 v[175:176], v[198:199], v[175:176]
	v_add_f64 v[185:186], v[200:201], v[185:186]
	v_fma_f64 v[200:201], v[126:127], s[20:21], v[187:188]
	v_add_f64 v[169:170], v[194:195], v[169:170]
	v_add_f64 v[173:174], v[196:197], v[173:174]
	v_fma_f64 v[177:178], v[112:113], s[6:7], v[179:180]
	v_mul_f64 v[196:197], v[120:121], s[8:9]
	v_fma_f64 v[187:188], v[126:127], s[46:47], v[187:188]
	v_fma_f64 v[194:195], v[86:87], s[8:9], -v[204:205]
	v_add_f64 v[185:186], v[202:203], v[185:186]
	v_mul_f64 v[198:199], v[106:107], s[28:29]
	v_add_f64 v[181:182], v[181:182], v[169:170]
	v_add_f64 v[171:172], v[200:201], v[173:174]
	v_mul_f64 v[173:174], v[122:123], s[26:27]
	v_add_f64 v[8:9], v[8:9], v[16:17]
	v_mul_f64 v[204:205], v[84:85], s[30:31]
	v_add_f64 v[10:11], v[14:15], v[10:11]
	v_add_f64 v[169:170], v[177:178], v[185:186]
	v_fma_f64 v[177:178], v[104:105], s[26:27], -v[183:184]
	v_fma_f64 v[183:184], v[100:101], s[42:43], v[196:197]
	v_add_f64 v[185:186], v[194:195], v[175:176]
	v_add_f64 v[175:176], v[187:188], v[181:182]
	v_mul_f64 v[187:188], v[128:129], s[16:17]
	v_fma_f64 v[194:195], v[82:83], s[38:39], v[173:174]
	v_fma_f64 v[196:197], v[100:101], s[28:29], v[196:197]
	;; [unrolled: 1-line block ×3, first 2 shown]
	v_mul_f64 v[181:182], v[159:160], s[22:23]
	v_add_f64 v[183:184], v[6:7], v[183:184]
	v_add_f64 v[177:178], v[177:178], v[185:186]
	v_mul_f64 v[185:186], v[153:154], s[4:5]
	v_fma_f64 v[202:203], v[90:91], s[18:19], v[187:188]
	v_fma_f64 v[187:188], v[90:91], s[44:45], v[187:188]
	v_add_f64 v[196:197], v[6:7], v[196:197]
	v_fma_f64 v[206:207], v[64:65], s[8:9], v[198:199]
	v_fma_f64 v[198:199], v[64:65], s[8:9], -v[198:199]
	v_add_f64 v[183:184], v[194:195], v[183:184]
	v_mul_f64 v[194:195], v[155:156], s[6:7]
	v_fma_f64 v[208:209], v[96:97], s[24:25], v[185:186]
	v_fma_f64 v[185:186], v[96:97], s[40:41], v[185:186]
	v_add_f64 v[8:9], v[12:13], v[8:9]
	v_add_f64 v[173:174], v[173:174], v[196:197]
	v_fma_f64 v[179:180], v[112:113], s[6:7], -v[179:180]
	v_fma_f64 v[200:201], v[126:127], s[36:37], v[181:182]
	v_add_f64 v[183:184], v[202:203], v[183:184]
	v_fma_f64 v[202:203], v[116:117], s[46:47], v[194:195]
	v_fma_f64 v[194:195], v[116:117], s[20:21], v[194:195]
	;; [unrolled: 1-line block ×3, first 2 shown]
	v_fma_f64 v[204:205], v[70:71], s[26:27], -v[204:205]
	v_add_f64 v[173:174], v[187:188], v[173:174]
	v_add_f64 v[198:199], v[4:5], v[198:199]
	;; [unrolled: 1-line block ×5, first 2 shown]
	v_mul_f64 v[147:148], v[64:65], s[4:5]
	v_mul_f64 v[151:152], v[120:121], s[4:5]
	v_fma_f64 v[181:182], v[126:127], s[34:35], v[181:182]
	v_add_f64 v[185:186], v[185:186], v[173:174]
	v_add_f64 v[173:174], v[179:180], v[177:178]
	;; [unrolled: 1-line block ×4, first 2 shown]
	v_mul_f64 v[204:205], v[124:125], s[34:35]
	v_mul_f64 v[106:107], v[106:107], s[20:21]
	;; [unrolled: 1-line block ×3, first 2 shown]
	v_add_f64 v[206:207], v[4:5], v[206:207]
	v_add_f64 v[10:11], v[38:39], v[10:11]
	;; [unrolled: 1-line block ×3, first 2 shown]
	v_mul_f64 v[143:144], v[70:71], s[6:7]
	v_add_f64 v[179:180], v[200:201], v[183:184]
	v_add_f64 v[183:184], v[194:195], v[185:186]
	v_mul_f64 v[194:195], v[120:121], s[6:7]
	v_mul_f64 v[149:150], v[122:123], s[6:7]
	v_add_f64 v[68:69], v[68:69], v[151:152]
	v_add_f64 v[36:37], v[147:148], -v[66:67]
	v_fma_f64 v[185:186], v[112:113], s[22:23], v[204:205]
	v_mul_f64 v[122:123], v[122:123], s[16:17]
	v_mul_f64 v[84:85], v[84:85], s[18:19]
	v_add_f64 v[120:121], v[181:182], v[183:184]
	v_fma_f64 v[183:184], v[100:101], s[46:47], v[194:195]
	v_fma_f64 v[100:101], v[100:101], s[20:21], v[194:195]
	v_fma_f64 v[181:182], v[112:113], s[22:23], -v[204:205]
	v_fma_f64 v[204:205], v[64:65], s[6:7], v[106:107]
	v_fma_f64 v[38:39], v[64:65], s[6:7], -v[106:107]
	v_mul_f64 v[214:215], v[98:99], s[40:41]
	v_fma_f64 v[196:197], v[76:77], s[16:17], v[210:211]
	v_add_f64 v[206:207], v[212:213], v[206:207]
	v_add_f64 v[10:11], v[22:23], v[10:11]
	;; [unrolled: 1-line block ×3, first 2 shown]
	v_mul_f64 v[141:142], v[76:77], s[8:9]
	v_mul_f64 v[145:146], v[128:129], s[8:9]
	v_add_f64 v[183:184], v[6:7], v[183:184]
	v_add_f64 v[100:101], v[6:7], v[100:101]
	v_mul_f64 v[24:25], v[94:95], s[30:31]
	v_add_f64 v[66:67], v[74:75], v[149:150]
	v_add_f64 v[6:7], v[6:7], v[68:69]
	v_add_f64 v[68:69], v[143:144], -v[72:73]
	v_add_f64 v[20:21], v[4:5], v[36:37]
	v_mul_f64 v[128:129], v[128:129], s[26:27]
	v_fma_f64 v[200:201], v[82:83], s[44:45], v[122:123]
	v_fma_f64 v[82:83], v[82:83], s[18:19], v[122:123]
	v_add_f64 v[94:95], v[4:5], v[204:205]
	v_fma_f64 v[64:65], v[70:71], s[16:17], -v[84:85]
	v_add_f64 v[4:5], v[4:5], v[38:39]
	v_fma_f64 v[187:188], v[86:87], s[4:5], v[214:215]
	v_add_f64 v[196:197], v[196:197], v[206:207]
	v_fma_f64 v[202:203], v[76:77], s[16:17], -v[210:211]
	v_fma_f64 v[26:27], v[70:71], s[16:17], v[84:85]
	v_add_f64 v[10:11], v[30:31], v[10:11]
	v_add_f64 v[8:9], v[28:29], v[8:9]
	v_mul_f64 v[134:135], v[86:87], s[16:17]
	v_mul_f64 v[138:139], v[153:154], s[16:17]
	v_fma_f64 v[18:19], v[76:77], s[26:27], v[24:25]
	v_fma_f64 v[22:23], v[76:77], s[26:27], -v[24:25]
	v_add_f64 v[24:25], v[80:81], v[145:146]
	v_add_f64 v[6:7], v[66:67], v[6:7]
	v_add_f64 v[36:37], v[141:142], -v[78:79]
	v_add_f64 v[20:21], v[68:69], v[20:21]
	v_mul_f64 v[153:154], v[153:154], s[22:23]
	v_fma_f64 v[194:195], v[90:91], s[38:39], v[128:129]
	v_fma_f64 v[90:91], v[90:91], s[30:31], v[128:129]
	v_add_f64 v[82:83], v[82:83], v[100:101]
	v_mul_f64 v[16:17], v[98:99], s[36:37]
	v_add_f64 v[4:5], v[64:65], v[4:5]
	v_mul_f64 v[208:209], v[110:111], s[20:21]
	v_add_f64 v[187:188], v[187:188], v[196:197]
	v_fma_f64 v[177:178], v[86:87], s[4:5], -v[214:215]
	v_add_f64 v[196:197], v[202:203], v[198:199]
	v_add_f64 v[183:184], v[200:201], v[183:184]
	;; [unrolled: 1-line block ×5, first 2 shown]
	v_mul_f64 v[132:133], v[104:105], s[22:23]
	v_mul_f64 v[136:137], v[155:156], s[22:23]
	v_add_f64 v[28:29], v[92:93], v[138:139]
	v_add_f64 v[6:7], v[24:25], v[6:7]
	v_add_f64 v[24:25], v[134:135], -v[88:89]
	v_add_f64 v[20:21], v[36:37], v[20:21]
	v_mul_f64 v[155:156], v[155:156], s[8:9]
	v_fma_f64 v[202:203], v[96:97], s[34:35], v[153:154]
	v_fma_f64 v[96:97], v[96:97], s[36:37], v[153:154]
	v_add_f64 v[82:83], v[90:91], v[82:83]
	v_mul_f64 v[12:13], v[110:111], s[42:43]
	v_fma_f64 v[14:15], v[86:87], s[22:23], v[16:17]
	v_fma_f64 v[16:17], v[86:87], s[22:23], -v[16:17]
	v_add_f64 v[4:5], v[22:23], v[4:5]
	v_fma_f64 v[198:199], v[104:105], s[6:7], -v[208:209]
	v_add_f64 v[177:178], v[177:178], v[196:197]
	v_add_f64 v[122:123], v[194:195], v[183:184]
	;; [unrolled: 1-line block ×5, first 2 shown]
	v_mul_f64 v[130:131], v[112:113], s[26:27]
	v_mul_f64 v[157:158], v[159:160], s[26:27]
	v_add_f64 v[22:23], v[108:109], v[136:137]
	v_add_f64 v[6:7], v[28:29], v[6:7]
	v_add_f64 v[28:29], v[132:133], -v[102:103]
	v_add_f64 v[20:21], v[24:25], v[20:21]
	v_mul_f64 v[159:160], v[159:160], s[4:5]
	v_fma_f64 v[90:91], v[116:117], s[42:43], v[155:156]
	v_add_f64 v[82:83], v[96:97], v[82:83]
	v_mul_f64 v[32:33], v[124:125], s[40:41]
	v_fma_f64 v[34:35], v[104:105], s[8:9], v[12:13]
	v_fma_f64 v[12:13], v[104:105], s[8:9], -v[12:13]
	v_add_f64 v[4:5], v[16:17], v[4:5]
	v_fma_f64 v[206:207], v[104:105], s[6:7], v[208:209]
	v_add_f64 v[177:178], v[198:199], v[177:178]
	v_fma_f64 v[198:199], v[116:117], s[28:29], v[155:156]
	v_add_f64 v[94:95], v[202:203], v[122:123]
	v_add_f64 v[14:15], v[14:15], v[18:19]
	;; [unrolled: 1-line block ×6, first 2 shown]
	v_add_f64 v[30:31], v[130:131], -v[114:115]
	v_add_f64 v[20:21], v[28:29], v[20:21]
	v_fma_f64 v[18:19], v[126:127], s[40:41], v[159:160]
	v_add_f64 v[82:83], v[90:91], v[82:83]
	v_fma_f64 v[16:17], v[112:113], s[4:5], -v[32:33]
	v_add_f64 v[4:5], v[12:13], v[4:5]
	v_add_f64 v[187:188], v[206:207], v[187:188]
	v_fma_f64 v[196:197], v[126:127], s[24:25], v[159:160]
	v_add_f64 v[26:27], v[198:199], v[94:95]
	v_fma_f64 v[28:29], v[112:113], s[4:5], v[32:33]
	v_add_f64 v[32:33], v[34:35], v[14:15]
	v_add_f64 v[14:15], v[54:55], v[36:37]
	;; [unrolled: 1-line block ×8, first 2 shown]
	v_add_lshl_u32 v20, v192, v191, 4
	v_add_f64 v[177:178], v[185:186], v[187:188]
	v_add_f64 v[18:19], v[196:197], v[26:27]
	;; [unrolled: 1-line block ×3, first 2 shown]
	ds_write_b128 v20, v[12:15]
	ds_write_b128 v20, v[8:11] offset:16
	ds_write_b128 v20, v[4:7] offset:32
	;; [unrolled: 1-line block ×12, first 2 shown]
.LBB0_7:
	s_or_b64 exec, exec, s[10:11]
	s_load_dwordx4 s[4:7], s[0:1], 0x0
	v_add_co_u32_e64 v48, s[0:1], 26, v189
	s_movk_i32 s8, 0x4f
	v_mul_lo_u16_sdwa v6, v48, s8 dst_sel:DWORD dst_unused:UNUSED_PAD src0_sel:BYTE_0 src1_sel:DWORD
	v_lshrrev_b16_e32 v127, 10, v6
	v_mul_lo_u16_e32 v6, 13, v127
	v_add_u32_e32 v4, -13, v189
	v_cmp_gt_u16_e64 s[0:1], 13, v189
	v_sub_u16_e32 v6, v48, v6
	v_cndmask_b32_e64 v55, v4, v189, s[0:1]
	v_and_b32_e32 v128, 0xff, v6
	v_mul_i32_i24_e32 v5, 48, v55
	v_mad_u64_u32 v[40:41], s[0:1], v128, 48, s[2:3]
	v_mul_hi_i32_i24_e32 v4, 48, v55
	v_mov_b32_e32 v56, s3
	v_add_co_u32_e64 v24, s[0:1], s2, v5
	v_addc_co_u32_e64 v25, s[0:1], v56, v4, s[0:1]
	s_waitcnt lgkmcnt(0)
	; wave barrier
	s_waitcnt lgkmcnt(0)
	global_load_dwordx4 v[8:11], v[24:25], off offset:16
	global_load_dwordx4 v[12:15], v[24:25], off
	global_load_dwordx4 v[4:7], v[40:41], off offset:16
	global_load_dwordx4 v[16:19], v[24:25], off offset:32
	global_load_dwordx4 v[20:23], v[40:41], off
	v_add_u16_e32 v24, 52, v189
	v_mul_lo_u16_sdwa v25, v24, s8 dst_sel:DWORD dst_unused:UNUSED_PAD src0_sel:BYTE_0 src1_sel:DWORD
	v_lshrrev_b16_e32 v129, 10, v25
	v_mul_lo_u16_e32 v25, 13, v129
	v_sub_u16_e32 v24, v24, v25
	v_and_b32_e32 v130, 0xff, v24
	v_mad_u64_u32 v[42:43], s[0:1], v130, 48, s[2:3]
	global_load_dwordx4 v[36:39], v[40:41], off offset:32
	global_load_dwordx4 v[32:35], v[42:43], off
	global_load_dwordx4 v[28:31], v[42:43], off offset:16
	global_load_dwordx4 v[24:27], v[42:43], off offset:32
	v_add_lshl_u32 v194, v192, v189, 4
	ds_read_b128 v[40:43], v194
	ds_read_b128 v[44:47], v194 offset:416
	ds_read_b128 v[49:52], v194 offset:2496
	;; [unrolled: 1-line block ×11, first 2 shown]
	v_cmp_lt_u16_e64 s[0:1], 12, v189
	s_waitcnt lgkmcnt(0)
	; wave barrier
	s_waitcnt lgkmcnt(0)
	s_mov_b32 s8, 0xe8584caa
	s_mov_b32 s9, 0x3febb67a
	v_lshlrev_b32_e32 v153, 4, v189
	s_movk_i32 s10, 0x1000
	v_lshl_add_u32 v195, v189, 4, v193
	s_waitcnt vmcnt(8)
	v_mul_f64 v[95:96], v[51:52], v[10:11]
	s_waitcnt vmcnt(7)
	v_mul_f64 v[53:54], v[63:64], v[14:15]
	v_mul_f64 v[93:94], v[61:62], v[14:15]
	;; [unrolled: 1-line block ×3, first 2 shown]
	s_waitcnt vmcnt(5)
	v_mul_f64 v[99:100], v[79:80], v[18:19]
	v_mul_f64 v[101:102], v[77:78], v[18:19]
	s_waitcnt vmcnt(4)
	v_mul_f64 v[103:104], v[71:72], v[22:23]
	v_mul_f64 v[105:106], v[69:70], v[22:23]
	v_mul_f64 v[107:108], v[59:60], v[6:7]
	v_mul_f64 v[109:110], v[57:58], v[6:7]
	v_fma_f64 v[53:54], v[61:62], v[12:13], -v[53:54]
	s_waitcnt vmcnt(3)
	v_mul_f64 v[111:112], v[87:88], v[38:39]
	v_mul_f64 v[113:114], v[85:86], v[38:39]
	s_waitcnt vmcnt(2)
	v_mul_f64 v[115:116], v[75:76], v[34:35]
	v_mul_f64 v[117:118], v[73:74], v[34:35]
	;; [unrolled: 3-line block ×4, first 2 shown]
	v_fma_f64 v[61:62], v[63:64], v[12:13], v[93:94]
	v_fma_f64 v[49:50], v[49:50], v[8:9], -v[95:96]
	v_fma_f64 v[51:52], v[51:52], v[8:9], v[97:98]
	v_fma_f64 v[63:64], v[77:78], v[16:17], -v[99:100]
	;; [unrolled: 2-line block ×8, first 2 shown]
	v_fma_f64 v[89:90], v[91:92], v[24:25], v[125:126]
	v_add_f64 v[91:92], v[40:41], -v[49:50]
	v_add_f64 v[93:94], v[42:43], -v[51:52]
	;; [unrolled: 1-line block ×12, first 2 shown]
	v_fma_f64 v[79:80], v[40:41], 2.0, -v[91:92]
	v_fma_f64 v[81:82], v[42:43], 2.0, -v[93:94]
	;; [unrolled: 1-line block ×12, first 2 shown]
	v_add_f64 v[44:45], v[95:96], -v[59:60]
	v_add_f64 v[46:47], v[97:98], v[57:58]
	v_add_f64 v[57:58], v[79:80], -v[53:54]
	v_add_f64 v[59:60], v[81:82], -v[61:62]
	;; [unrolled: 1-line block ×3, first 2 shown]
	v_add_f64 v[42:43], v[93:94], v[49:50]
	v_add_f64 v[51:52], v[101:102], v[63:64]
	v_add_f64 v[61:62], v[83:84], -v[69:70]
	v_add_f64 v[63:64], v[85:86], -v[71:72]
	;; [unrolled: 1-line block ×5, first 2 shown]
	v_fma_f64 v[73:74], v[79:80], 2.0, -v[57:58]
	v_fma_f64 v[75:76], v[81:82], 2.0, -v[59:60]
	;; [unrolled: 1-line block ×8, first 2 shown]
	v_cndmask_b32_e64 v53, 0, 52, s[0:1]
	v_fma_f64 v[81:82], v[95:96], 2.0, -v[44:45]
	v_fma_f64 v[83:84], v[97:98], 2.0, -v[46:47]
	;; [unrolled: 1-line block ×4, first 2 shown]
	v_add_u32_e32 v53, v55, v53
	v_add_lshl_u32 v154, v192, v53, 4
	ds_write_b128 v154, v[73:76]
	ds_write_b128 v154, v[65:68] offset:208
	ds_write_b128 v154, v[57:60] offset:416
	;; [unrolled: 1-line block ×3, first 2 shown]
	v_mul_u32_u24_e32 v40, 52, v127
	v_add_u32_e32 v40, v40, v128
	v_add_lshl_u32 v155, v192, v40, 4
	v_mul_u32_u24_e32 v40, 52, v129
	v_add_u32_e32 v40, v40, v130
	v_add_lshl_u32 v199, v192, v40, 4
	v_lshlrev_b32_e32 v57, 5, v189
	ds_write_b128 v155, v[77:80]
	ds_write_b128 v155, v[81:84] offset:208
	ds_write_b128 v155, v[61:64] offset:416
	;; [unrolled: 1-line block ×3, first 2 shown]
	ds_write_b128 v199, v[85:88]
	ds_write_b128 v199, v[89:92] offset:208
	ds_write_b128 v199, v[69:72] offset:416
	;; [unrolled: 1-line block ×3, first 2 shown]
	s_waitcnt lgkmcnt(0)
	; wave barrier
	s_waitcnt lgkmcnt(0)
	global_load_dwordx4 v[44:47], v57, s[2:3] offset:624
	global_load_dwordx4 v[40:43], v57, s[2:3] offset:640
	v_lshlrev_b32_e32 v58, 5, v48
	global_load_dwordx4 v[52:55], v58, s[2:3] offset:624
	global_load_dwordx4 v[48:51], v58, s[2:3] offset:640
	v_add_co_u32_e64 v136, s[0:1], s2, v57
	v_addc_co_u32_e64 v137, s[0:1], 0, v56, s[0:1]
	ds_read_b128 v[56:59], v194
	ds_read_b128 v[60:63], v194 offset:416
	ds_read_b128 v[64:67], v194 offset:1664
	;; [unrolled: 1-line block ×11, first 2 shown]
	s_mov_b32 s3, 0xbfebb67a
	s_mov_b32 s2, s8
	s_waitcnt lgkmcnt(0)
	; wave barrier
	s_waitcnt vmcnt(3) lgkmcnt(0)
	v_mul_f64 v[104:105], v[66:67], v[46:47]
	s_waitcnt vmcnt(2)
	v_mul_f64 v[108:109], v[74:75], v[42:43]
	v_mul_f64 v[106:107], v[64:65], v[46:47]
	;; [unrolled: 1-line block ×3, first 2 shown]
	s_waitcnt vmcnt(1)
	v_mul_f64 v[112:113], v[70:71], v[54:55]
	s_waitcnt vmcnt(0)
	v_mul_f64 v[116:117], v[78:79], v[50:51]
	v_mul_f64 v[120:121], v[90:91], v[46:47]
	;; [unrolled: 1-line block ×4, first 2 shown]
	v_fma_f64 v[64:65], v[64:65], v[44:45], -v[104:105]
	v_fma_f64 v[72:73], v[72:73], v[40:41], -v[108:109]
	v_mul_f64 v[114:115], v[68:69], v[54:55]
	v_mul_f64 v[118:119], v[76:77], v[50:51]
	v_mul_f64 v[122:123], v[88:89], v[46:47]
	v_mul_f64 v[126:127], v[96:97], v[42:43]
	v_mul_f64 v[130:131], v[92:93], v[54:55]
	v_fma_f64 v[66:67], v[66:67], v[44:45], v[106:107]
	v_fma_f64 v[74:75], v[74:75], v[40:41], v[110:111]
	v_fma_f64 v[68:69], v[68:69], v[52:53], -v[112:113]
	v_fma_f64 v[76:77], v[76:77], v[48:49], -v[116:117]
	;; [unrolled: 1-line block ×5, first 2 shown]
	v_add_f64 v[88:89], v[56:57], v[64:65]
	v_add_f64 v[92:93], v[64:65], v[72:73]
	v_mul_f64 v[132:133], v[102:103], v[50:51]
	v_mul_f64 v[134:135], v[100:101], v[50:51]
	v_fma_f64 v[70:71], v[70:71], v[52:53], v[114:115]
	v_fma_f64 v[78:79], v[78:79], v[48:49], v[118:119]
	;; [unrolled: 1-line block ×4, first 2 shown]
	v_add_f64 v[108:109], v[66:67], -v[74:75]
	v_add_f64 v[114:115], v[64:65], -v[72:73]
	v_add_f64 v[116:117], v[60:61], v[68:69]
	v_add_f64 v[118:119], v[68:69], v[76:77]
	v_add_f64 v[124:125], v[68:69], -v[76:77]
	v_add_f64 v[68:69], v[104:105], v[96:97]
	v_add_f64 v[64:65], v[88:89], v[72:73]
	v_fma_f64 v[72:73], v[92:93], -0.5, v[56:57]
	v_fma_f64 v[94:95], v[94:95], v[52:53], v[130:131]
	v_fma_f64 v[100:101], v[100:101], v[48:49], -v[132:133]
	v_fma_f64 v[102:103], v[102:103], v[48:49], v[134:135]
	v_add_f64 v[110:111], v[58:59], v[66:67]
	v_add_f64 v[112:113], v[66:67], v[74:75]
	v_add_f64 v[120:121], v[70:71], -v[78:79]
	v_add_f64 v[122:123], v[62:63], v[70:71]
	v_add_f64 v[70:71], v[70:71], v[78:79]
	;; [unrolled: 1-line block ×4, first 2 shown]
	v_fma_f64 v[76:77], v[118:119], -0.5, v[60:61]
	v_fma_f64 v[92:93], v[68:69], -0.5, v[80:81]
	v_fma_f64 v[60:61], v[108:109], s[8:9], v[72:73]
	v_fma_f64 v[68:69], v[108:109], s[2:3], v[72:73]
	v_add_f64 v[108:109], v[90:91], v[98:99]
	v_add_f64 v[66:67], v[110:111], v[74:75]
	v_fma_f64 v[74:75], v[112:113], -0.5, v[58:59]
	v_add_f64 v[110:111], v[106:107], v[100:101]
	v_add_f64 v[112:113], v[94:95], v[102:103]
	;; [unrolled: 1-line block ×3, first 2 shown]
	v_fma_f64 v[78:79], v[70:71], -0.5, v[62:63]
	v_add_f64 v[128:129], v[90:91], -v[98:99]
	v_add_f64 v[90:91], v[82:83], v[90:91]
	v_add_f64 v[80:81], v[126:127], v[96:97]
	v_fma_f64 v[108:109], v[108:109], -0.5, v[82:83]
	v_add_f64 v[96:97], v[104:105], -v[96:97]
	v_fma_f64 v[62:63], v[114:115], s[2:3], v[74:75]
	v_fma_f64 v[70:71], v[114:115], s[8:9], v[74:75]
	v_add_f64 v[104:105], v[84:85], v[106:107]
	v_fma_f64 v[110:111], v[110:111], -0.5, v[84:85]
	v_add_f64 v[114:115], v[94:95], -v[102:103]
	v_add_f64 v[116:117], v[86:87], v[94:95]
	v_fma_f64 v[112:113], v[112:113], -0.5, v[86:87]
	v_add_f64 v[106:107], v[106:107], -v[100:101]
	v_fma_f64 v[72:73], v[120:121], s[8:9], v[76:77]
	v_fma_f64 v[74:75], v[124:125], s[2:3], v[78:79]
	;; [unrolled: 1-line block ×4, first 2 shown]
	v_add_f64 v[82:83], v[90:91], v[98:99]
	v_fma_f64 v[88:89], v[128:129], s[8:9], v[92:93]
	v_fma_f64 v[90:91], v[96:97], s[2:3], v[108:109]
	;; [unrolled: 1-line block ×4, first 2 shown]
	v_add_f64 v[84:85], v[104:105], v[100:101]
	v_fma_f64 v[96:97], v[114:115], s[8:9], v[110:111]
	v_fma_f64 v[100:101], v[114:115], s[2:3], v[110:111]
	v_add_f64 v[86:87], v[116:117], v[102:103]
	v_fma_f64 v[98:99], v[106:107], s[2:3], v[112:113]
	v_fma_f64 v[102:103], v[106:107], s[8:9], v[112:113]
	ds_write_b128 v194, v[64:67]
	ds_write_b128 v194, v[60:63] offset:832
	ds_write_b128 v194, v[68:71] offset:1664
	ds_write_b128 v194, v[56:59] offset:416
	ds_write_b128 v194, v[72:75] offset:1248
	ds_write_b128 v194, v[76:79] offset:2080
	ds_write_b128 v194, v[80:83] offset:2496
	ds_write_b128 v194, v[88:91] offset:3328
	ds_write_b128 v194, v[92:95] offset:4160
	ds_write_b128 v194, v[84:87] offset:2912
	ds_write_b128 v194, v[96:99] offset:3744
	ds_write_b128 v194, v[100:103] offset:4576
	v_sub_co_u32_e64 v76, s[0:1], v136, v153
	v_subbrev_co_u32_e64 v77, s[0:1], 0, v137, s[0:1]
	s_waitcnt lgkmcnt(0)
	; wave barrier
	s_waitcnt lgkmcnt(0)
	global_load_dwordx4 v[56:59], v[76:77], off offset:2288
	global_load_dwordx4 v[60:63], v[76:77], off offset:2704
	;; [unrolled: 1-line block ×5, first 2 shown]
	v_add_co_u32_e64 v76, s[0:1], s10, v76
	v_addc_co_u32_e64 v77, s[0:1], 0, v77, s[0:1]
	global_load_dwordx4 v[76:79], v[76:77], off offset:272
	ds_read_b128 v[80:83], v194
	ds_read_b128 v[96:99], v194 offset:416
	ds_read_b128 v[84:87], v194 offset:2496
	;; [unrolled: 1-line block ×11, first 2 shown]
	s_waitcnt vmcnt(5) lgkmcnt(9)
	v_mul_f64 v[128:129], v[86:87], v[58:59]
	v_mul_f64 v[130:131], v[84:85], v[58:59]
	s_waitcnt vmcnt(4) lgkmcnt(8)
	v_mul_f64 v[132:133], v[90:91], v[62:63]
	v_mul_f64 v[134:135], v[88:89], v[62:63]
	;; [unrolled: 3-line block ×6, first 2 shown]
	v_fma_f64 v[84:85], v[84:85], v[56:57], -v[128:129]
	v_fma_f64 v[86:87], v[86:87], v[56:57], v[130:131]
	v_fma_f64 v[88:89], v[88:89], v[60:61], -v[132:133]
	v_fma_f64 v[90:91], v[90:91], v[60:61], v[134:135]
	;; [unrolled: 2-line block ×6, first 2 shown]
	v_add_f64 v[84:85], v[80:81], -v[84:85]
	v_add_f64 v[86:87], v[82:83], -v[86:87]
	;; [unrolled: 1-line block ×12, first 2 shown]
	v_fma_f64 v[80:81], v[80:81], 2.0, -v[84:85]
	v_fma_f64 v[82:83], v[82:83], 2.0, -v[86:87]
	;; [unrolled: 1-line block ×12, first 2 shown]
	v_add_u32_e32 v132, v153, v193
	ds_write_b128 v195, v[80:83]
	ds_write_b128 v195, v[84:87] offset:2496
	ds_write_b128 v195, v[96:99] offset:416
	;; [unrolled: 1-line block ×11, first 2 shown]
	s_waitcnt lgkmcnt(0)
	; wave barrier
	s_waitcnt lgkmcnt(0)
	s_and_saveexec_b64 s[2:3], vcc
	s_cbranch_execz .LBB0_9
; %bb.8:
	s_add_u32 s8, s12, 0x1380
	s_addc_u32 s9, s13, 0
	v_add_co_u32_e64 v139, s[0:1], s8, v190
	v_mov_b32_e32 v133, s9
	v_addc_co_u32_e64 v145, s[0:1], 0, v133, s[0:1]
	global_load_dwordx4 v[133:136], v190, s[8:9]
	ds_read_b128 v[128:131], v195
	s_waitcnt vmcnt(0) lgkmcnt(0)
	v_mul_f64 v[137:138], v[130:131], v[135:136]
	v_fma_f64 v[141:142], v[128:129], v[133:134], -v[137:138]
	v_mul_f64 v[128:129], v[128:129], v[135:136]
	v_fma_f64 v[143:144], v[130:131], v[133:134], v[128:129]
	global_load_dwordx4 v[133:136], v190, s[8:9] offset:384
	ds_read_b128 v[128:131], v195 offset:384
	ds_write_b128 v195, v[141:144]
	s_waitcnt vmcnt(0) lgkmcnt(1)
	v_mul_f64 v[137:138], v[130:131], v[135:136]
	v_fma_f64 v[141:142], v[128:129], v[133:134], -v[137:138]
	v_mul_f64 v[128:129], v[128:129], v[135:136]
	v_fma_f64 v[143:144], v[130:131], v[133:134], v[128:129]
	global_load_dwordx4 v[133:136], v190, s[8:9] offset:768
	ds_read_b128 v[128:131], v195 offset:768
	ds_write_b128 v195, v[141:144] offset:384
	s_waitcnt vmcnt(0) lgkmcnt(1)
	v_mul_f64 v[137:138], v[130:131], v[135:136]
	v_fma_f64 v[141:142], v[128:129], v[133:134], -v[137:138]
	v_mul_f64 v[128:129], v[128:129], v[135:136]
	v_fma_f64 v[143:144], v[130:131], v[133:134], v[128:129]
	global_load_dwordx4 v[133:136], v190, s[8:9] offset:1152
	ds_read_b128 v[128:131], v195 offset:1152
	ds_write_b128 v195, v[141:144] offset:768
	;; [unrolled: 8-line block ×9, first 2 shown]
	s_waitcnt vmcnt(0) lgkmcnt(1)
	v_mul_f64 v[137:138], v[130:131], v[135:136]
	v_fma_f64 v[141:142], v[128:129], v[133:134], -v[137:138]
	v_mul_f64 v[128:129], v[128:129], v[135:136]
	v_fma_f64 v[143:144], v[130:131], v[133:134], v[128:129]
	v_add_co_u32_e64 v133, s[0:1], s10, v139
	v_addc_co_u32_e64 v134, s[0:1], 0, v145, s[0:1]
	global_load_dwordx4 v[133:136], v[133:134], off offset:128
	ds_read_b128 v[128:131], v195 offset:4224
	ds_write_b128 v195, v[141:144] offset:3840
	s_waitcnt vmcnt(0) lgkmcnt(1)
	v_mul_f64 v[137:138], v[130:131], v[135:136]
	v_fma_f64 v[141:142], v[128:129], v[133:134], -v[137:138]
	v_mul_f64 v[128:129], v[128:129], v[135:136]
	v_fma_f64 v[143:144], v[130:131], v[133:134], v[128:129]
	v_or_b32_e32 v133, 0x1200, v190
	global_load_dwordx4 v[133:136], v133, s[8:9]
	ds_read_b128 v[128:131], v195 offset:4608
	ds_write_b128 v195, v[141:144] offset:4224
	s_waitcnt vmcnt(0) lgkmcnt(1)
	v_mul_f64 v[137:138], v[130:131], v[135:136]
	v_fma_f64 v[141:142], v[128:129], v[133:134], -v[137:138]
	v_mul_f64 v[128:129], v[128:129], v[135:136]
	v_fma_f64 v[143:144], v[130:131], v[133:134], v[128:129]
	ds_write_b128 v195, v[141:144] offset:4608
.LBB0_9:
	s_or_b64 exec, exec, s[2:3]
	s_waitcnt lgkmcnt(0)
	; wave barrier
	s_waitcnt lgkmcnt(0)
	s_and_saveexec_b64 s[0:1], vcc
	s_cbranch_execz .LBB0_11
; %bb.10:
	ds_read_b128 v[80:83], v195
	ds_read_b128 v[84:87], v195 offset:384
	ds_read_b128 v[96:99], v195 offset:768
	;; [unrolled: 1-line block ×12, first 2 shown]
.LBB0_11:
	s_or_b64 exec, exec, s[0:1]
	v_add_u32_e32 v133, 0x680, v132
	v_add_u32_e32 v132, 0x820, v132
	s_waitcnt lgkmcnt(0)
	; wave barrier
	s_waitcnt lgkmcnt(0)
	s_and_saveexec_b64 s[0:1], vcc
	s_cbranch_execz .LBB0_13
; %bb.12:
	v_add_f64 v[141:142], v[102:103], v[114:115]
	buffer_store_dword v132, off, s[48:51], 0 offset:16 ; 4-byte Folded Spill
	buffer_store_dword v133, off, s[48:51], 0 offset:20 ; 4-byte Folded Spill
	;; [unrolled: 1-line block ×4, first 2 shown]
	v_add_f64 v[187:188], v[84:85], -v[0:1]
	s_mov_b32 s18, 0x4bc48dbf
	s_mov_b32 s19, 0xbfcea1e5
	v_add_f64 v[185:186], v[96:97], -v[116:117]
	buffer_store_dword v140, off, s[48:51], 0 ; 4-byte Folded Spill
	s_nop 0
	buffer_store_dword v141, off, s[48:51], 0 offset:4 ; 4-byte Folded Spill
	v_add_f64 v[155:156], v[2:3], v[86:87]
	s_mov_b32 s16, 0x93053d00
	s_mov_b32 s21, 0x3fddbe06
	v_mul_f64 v[136:137], v[187:188], s[18:19]
	s_mov_b32 s20, 0x4267c47c
	s_mov_b32 s17, 0xbfef11f4
	v_add_f64 v[159:160], v[88:89], -v[124:125]
	v_mul_f64 v[138:139], v[185:186], s[20:21]
	v_add_f64 v[151:152], v[118:119], v[98:99]
	v_add_f64 v[167:168], v[86:87], -v[2:3]
	s_mov_b32 s26, 0x24c2f84
	v_fma_f64 v[157:158], v[155:156], s[16:17], v[136:137]
	s_mov_b32 s22, 0xe00740e9
	s_mov_b32 s27, 0xbfe5384d
	;; [unrolled: 1-line block ×3, first 2 shown]
	v_add_f64 v[149:150], v[104:105], -v[108:109]
	v_mul_f64 v[171:172], v[159:160], s[26:27]
	v_add_f64 v[153:154], v[90:91], v[126:127]
	v_fma_f64 v[161:162], v[151:152], s[22:23], v[138:139]
	v_add_f64 v[169:170], v[82:83], v[157:158]
	v_add_f64 v[165:166], v[98:99], -v[118:119]
	v_add_f64 v[163:164], v[0:1], v[84:85]
	v_mul_f64 v[177:178], v[167:168], s[18:19]
	s_mov_b32 s38, 0x42a4c3d2
	s_mov_b32 s24, 0xd0032e0c
	;; [unrolled: 1-line block ×4, first 2 shown]
	v_mul_f64 v[134:135], v[149:150], s[38:39]
	v_add_f64 v[157:158], v[106:107], v[110:111]
	v_fma_f64 v[173:174], v[153:154], s[24:25], v[171:172]
	v_add_f64 v[175:176], v[161:162], v[169:170]
	v_add_f64 v[169:170], v[90:91], -v[126:127]
	v_add_f64 v[161:162], v[116:117], v[96:97]
	v_mul_f64 v[202:203], v[165:166], s[20:21]
	v_fma_f64 v[181:182], v[163:164], s[16:17], -v[177:178]
	v_fma_f64 v[136:137], v[155:156], s[16:17], -v[136:137]
	s_mov_b32 s28, 0x1ea71119
	s_mov_b32 s29, 0x3fe22d96
	v_add_f64 v[147:148], v[92:93], -v[120:121]
	v_fma_f64 v[183:184], v[157:158], s[28:29], v[134:135]
	v_add_f64 v[173:174], v[173:174], v[175:176]
	v_add_f64 v[179:180], v[106:107], -v[110:111]
	v_add_f64 v[175:176], v[88:89], v[124:125]
	v_mul_f64 v[204:205], v[169:170], s[26:27]
	v_fma_f64 v[206:207], v[161:162], s[22:23], -v[202:203]
	v_add_f64 v[208:209], v[80:81], v[181:182]
	v_fma_f64 v[138:139], v[151:152], s[22:23], -v[138:139]
	v_add_f64 v[136:137], v[82:83], v[136:137]
	s_mov_b32 s10, 0x2ef20147
	s_mov_b32 s11, 0xbfedeba7
	v_add_f64 v[145:146], v[112:113], -v[100:101]
	v_add_f64 v[143:144], v[122:123], v[94:95]
	v_mul_f64 v[128:129], v[147:148], s[10:11]
	v_add_f64 v[210:211], v[183:184], v[173:174]
	v_add_f64 v[181:182], v[94:95], -v[122:123]
	v_add_f64 v[173:174], v[104:105], v[108:109]
	v_mul_f64 v[212:213], v[179:180], s[38:39]
	v_fma_f64 v[214:215], v[175:176], s[24:25], -v[204:205]
	v_add_f64 v[206:207], v[206:207], v[208:209]
	v_fma_f64 v[208:209], v[153:154], s[24:25], -v[171:172]
	v_add_f64 v[136:137], v[138:139], v[136:137]
	v_fma_f64 v[218:219], v[163:164], s[16:17], v[177:178]
	s_mov_b32 s30, 0x66966769
	s_mov_b32 s8, 0xb2365da1
	;; [unrolled: 1-line block ×4, first 2 shown]
	v_mul_f64 v[130:131], v[145:146], s[30:31]
	v_fma_f64 v[132:133], v[143:144], s[8:9], v[128:129]
	v_add_f64 v[183:184], v[114:115], -v[102:103]
	v_add_f64 v[171:172], v[120:121], v[92:93]
	v_mul_f64 v[138:139], v[181:182], s[10:11]
	v_fma_f64 v[216:217], v[173:174], s[28:29], -v[212:213]
	v_add_f64 v[206:207], v[214:215], v[206:207]
	v_fma_f64 v[134:135], v[157:158], s[28:29], -v[134:135]
	v_add_f64 v[136:137], v[208:209], v[136:137]
	v_fma_f64 v[202:203], v[161:162], s[22:23], v[202:203]
	v_add_f64 v[218:219], v[80:81], v[218:219]
	s_mov_b32 s2, 0xebaa3ed8
	s_mov_b32 s3, 0x3fbedb7d
	v_add_f64 v[177:178], v[100:101], v[112:113]
	v_mul_f64 v[208:209], v[183:184], s[30:31]
	v_fma_f64 v[214:215], v[171:172], s[8:9], -v[138:139]
	v_add_f64 v[206:207], v[216:217], v[206:207]
	v_add_f64 v[134:135], v[134:135], v[136:137]
	v_fma_f64 v[136:137], v[141:142], s[2:3], v[130:131]
	v_add_f64 v[132:133], v[132:133], v[210:211]
	v_fma_f64 v[204:205], v[175:176], s[24:25], v[204:205]
	v_add_f64 v[202:203], v[202:203], v[218:219]
	v_mul_f64 v[216:217], v[187:188], s[26:27]
	v_fma_f64 v[128:129], v[143:144], s[8:9], -v[128:129]
	v_fma_f64 v[210:211], v[177:178], s[2:3], -v[208:209]
	v_add_f64 v[206:207], v[214:215], v[206:207]
	v_fma_f64 v[214:215], v[141:142], s[2:3], -v[130:131]
	v_add_f64 v[130:131], v[136:137], v[132:133]
	v_mul_f64 v[136:137], v[185:186], s[30:31]
	v_add_f64 v[202:203], v[204:205], v[202:203]
	v_fma_f64 v[204:205], v[155:156], s[24:25], v[216:217]
	v_fma_f64 v[216:217], v[155:156], s[24:25], -v[216:217]
	s_mov_b32 s35, 0xbfea55e2
	s_mov_b32 s34, s38
	v_add_f64 v[134:135], v[128:129], v[134:135]
	v_fma_f64 v[212:213], v[173:174], s[28:29], v[212:213]
	v_add_f64 v[128:129], v[210:211], v[206:207]
	v_fma_f64 v[132:133], v[177:178], s[2:3], v[208:209]
	v_mul_f64 v[206:207], v[167:168], s[26:27]
	v_mul_f64 v[208:209], v[159:160], s[34:35]
	v_fma_f64 v[210:211], v[151:152], s[2:3], v[136:137]
	v_add_f64 v[204:205], v[82:83], v[204:205]
	v_fma_f64 v[136:137], v[151:152], s[2:3], -v[136:137]
	v_add_f64 v[216:217], v[82:83], v[216:217]
	s_mov_b32 s43, 0x3fcea1e5
	s_mov_b32 s42, s18
	v_add_f64 v[134:135], v[214:215], v[134:135]
	v_add_f64 v[202:203], v[212:213], v[202:203]
	v_mul_f64 v[212:213], v[165:166], s[30:31]
	v_fma_f64 v[214:215], v[163:164], s[24:25], -v[206:207]
	v_mul_f64 v[218:219], v[149:150], s[42:43]
	v_fma_f64 v[220:221], v[153:154], s[28:29], v[208:209]
	v_add_f64 v[204:205], v[210:211], v[204:205]
	v_fma_f64 v[208:209], v[153:154], s[28:29], -v[208:209]
	v_add_f64 v[136:137], v[136:137], v[216:217]
	v_mul_f64 v[210:211], v[147:148], s[20:21]
	v_mul_f64 v[222:223], v[169:170], s[34:35]
	v_fma_f64 v[224:225], v[161:162], s[2:3], -v[212:213]
	v_add_f64 v[214:215], v[80:81], v[214:215]
	v_fma_f64 v[226:227], v[157:158], s[16:17], v[218:219]
	v_add_f64 v[204:205], v[220:221], v[204:205]
	v_fma_f64 v[218:219], v[157:158], s[16:17], -v[218:219]
	v_add_f64 v[136:137], v[208:209], v[136:137]
	v_fma_f64 v[206:207], v[163:164], s[24:25], v[206:207]
	v_fma_f64 v[138:139], v[171:172], s[8:9], v[138:139]
	v_mul_f64 v[220:221], v[145:146], s[10:11]
	v_mul_f64 v[228:229], v[179:180], s[42:43]
	v_fma_f64 v[230:231], v[175:176], s[28:29], -v[222:223]
	v_add_f64 v[214:215], v[224:225], v[214:215]
	v_fma_f64 v[224:225], v[143:144], s[22:23], v[210:211]
	v_add_f64 v[204:205], v[226:227], v[204:205]
	v_fma_f64 v[210:211], v[143:144], s[22:23], -v[210:211]
	v_add_f64 v[136:137], v[218:219], v[136:137]
	v_fma_f64 v[212:213], v[161:162], s[2:3], v[212:213]
	v_add_f64 v[206:207], v[80:81], v[206:207]
	v_add_f64 v[138:139], v[138:139], v[202:203]
	v_mul_f64 v[202:203], v[181:182], s[20:21]
	v_fma_f64 v[216:217], v[173:174], s[16:17], -v[228:229]
	v_add_f64 v[214:215], v[230:231], v[214:215]
	v_fma_f64 v[226:227], v[141:142], s[8:9], v[220:221]
	v_add_f64 v[204:205], v[224:225], v[204:205]
	v_mul_f64 v[218:219], v[187:188], s[10:11]
	v_add_f64 v[210:211], v[210:211], v[136:137]
	v_fma_f64 v[136:137], v[175:176], s[28:29], v[222:223]
	v_add_f64 v[206:207], v[212:213], v[206:207]
	v_mul_f64 v[212:213], v[167:168], s[10:11]
	s_mov_b32 s41, 0x3fe5384d
	s_mov_b32 s40, s26
	v_fma_f64 v[224:225], v[171:172], s[22:23], -v[202:203]
	v_add_f64 v[214:215], v[216:217], v[214:215]
	v_add_f64 v[132:133], v[132:133], v[138:139]
	;; [unrolled: 1-line block ×3, first 2 shown]
	v_fma_f64 v[216:217], v[141:142], s[8:9], -v[220:221]
	v_mul_f64 v[220:221], v[185:186], s[40:41]
	v_fma_f64 v[222:223], v[155:156], s[8:9], v[218:219]
	v_add_f64 v[136:137], v[136:137], v[206:207]
	v_mul_f64 v[226:227], v[165:166], s[40:41]
	v_fma_f64 v[206:207], v[163:164], s[8:9], -v[212:213]
	v_fma_f64 v[218:219], v[155:156], s[8:9], -v[218:219]
	v_add_f64 v[214:215], v[224:225], v[214:215]
	v_fma_f64 v[224:225], v[173:174], s[16:17], v[228:229]
	v_mul_f64 v[228:229], v[159:160], s[20:21]
	v_fma_f64 v[230:231], v[151:152], s[24:25], v[220:221]
	v_add_f64 v[222:223], v[82:83], v[222:223]
	v_mul_f64 v[232:233], v[169:170], s[20:21]
	v_fma_f64 v[234:235], v[161:162], s[24:25], -v[226:227]
	v_add_f64 v[206:207], v[80:81], v[206:207]
	v_fma_f64 v[220:221], v[151:152], s[24:25], -v[220:221]
	v_add_f64 v[218:219], v[82:83], v[218:219]
	s_mov_b32 s37, 0xbfefc445
	s_mov_b32 s36, s30
	v_mul_f64 v[208:209], v[183:184], s[10:11]
	v_mul_f64 v[236:237], v[149:150], s[36:37]
	v_fma_f64 v[238:239], v[153:154], s[22:23], v[228:229]
	v_add_f64 v[222:223], v[230:231], v[222:223]
	v_add_f64 v[136:137], v[224:225], v[136:137]
	v_mul_f64 v[224:225], v[179:180], s[36:37]
	v_fma_f64 v[230:231], v[175:176], s[22:23], -v[232:233]
	v_add_f64 v[206:207], v[234:235], v[206:207]
	v_fma_f64 v[228:229], v[153:154], s[22:23], -v[228:229]
	v_add_f64 v[218:219], v[220:221], v[218:219]
	v_fma_f64 v[204:205], v[177:178], s[8:9], -v[208:209]
	v_fma_f64 v[202:203], v[171:172], s[22:23], v[202:203]
	v_mul_f64 v[234:235], v[147:148], s[42:43]
	v_fma_f64 v[240:241], v[157:158], s[2:3], v[236:237]
	v_add_f64 v[222:223], v[238:239], v[222:223]
	v_mul_f64 v[238:239], v[181:182], s[42:43]
	v_fma_f64 v[242:243], v[173:174], s[2:3], -v[224:225]
	v_add_f64 v[206:207], v[230:231], v[206:207]
	v_fma_f64 v[236:237], v[157:158], s[2:3], -v[236:237]
	v_add_f64 v[218:219], v[228:229], v[218:219]
	v_mul_f64 v[230:231], v[145:146], s[38:39]
	v_fma_f64 v[244:245], v[143:144], s[16:17], v[234:235]
	v_add_f64 v[222:223], v[240:241], v[222:223]
	v_mul_f64 v[220:221], v[183:184], s[38:39]
	v_fma_f64 v[240:241], v[171:172], s[16:17], -v[238:239]
	v_add_f64 v[206:207], v[242:243], v[206:207]
	v_add_f64 v[202:203], v[202:203], v[136:137]
	;; [unrolled: 1-line block ×4, first 2 shown]
	v_fma_f64 v[210:211], v[163:164], s[8:9], v[212:213]
	v_fma_f64 v[212:213], v[143:144], s[16:17], -v[234:235]
	v_add_f64 v[214:215], v[236:237], v[218:219]
	v_fma_f64 v[208:209], v[177:178], s[8:9], v[208:209]
	v_fma_f64 v[242:243], v[141:142], s[28:29], v[230:231]
	v_add_f64 v[222:223], v[244:245], v[222:223]
	v_fma_f64 v[228:229], v[177:178], s[28:29], -v[220:221]
	v_add_f64 v[206:207], v[240:241], v[206:207]
	v_fma_f64 v[216:217], v[161:162], s[24:25], v[226:227]
	v_mul_f64 v[218:219], v[187:188], s[36:37]
	v_add_f64 v[210:211], v[80:81], v[210:211]
	v_add_f64 v[212:213], v[212:213], v[214:215]
	v_fma_f64 v[214:215], v[173:174], s[2:3], v[224:225]
	v_mul_f64 v[224:225], v[167:168], s[36:37]
	v_add_f64 v[202:203], v[208:209], v[202:203]
	v_add_f64 v[208:209], v[242:243], v[222:223]
	;; [unrolled: 1-line block ×3, first 2 shown]
	v_fma_f64 v[222:223], v[141:142], s[28:29], -v[230:231]
	v_fma_f64 v[226:227], v[175:176], s[22:23], v[232:233]
	v_mul_f64 v[228:229], v[185:186], s[18:19]
	v_fma_f64 v[230:231], v[155:156], s[2:3], v[218:219]
	v_add_f64 v[210:211], v[216:217], v[210:211]
	v_mul_f64 v[232:233], v[165:166], s[18:19]
	v_fma_f64 v[216:217], v[163:164], s[2:3], -v[224:225]
	s_mov_b32 s39, 0x3fedeba7
	s_mov_b32 s38, s10
	v_mul_f64 v[234:235], v[159:160], s[38:39]
	v_fma_f64 v[236:237], v[151:152], s[16:17], v[228:229]
	v_add_f64 v[230:231], v[82:83], v[230:231]
	v_add_f64 v[210:211], v[226:227], v[210:211]
	v_fma_f64 v[226:227], v[171:172], s[16:17], v[238:239]
	v_mul_f64 v[238:239], v[169:170], s[38:39]
	v_fma_f64 v[240:241], v[161:162], s[16:17], -v[232:233]
	v_add_f64 v[216:217], v[80:81], v[216:217]
	v_mul_f64 v[242:243], v[149:150], s[20:21]
	v_fma_f64 v[244:245], v[153:154], s[8:9], v[234:235]
	v_add_f64 v[230:231], v[236:237], v[230:231]
	v_add_f64 v[210:211], v[214:215], v[210:211]
	v_mul_f64 v[236:237], v[179:180], s[20:21]
	v_fma_f64 v[214:215], v[175:176], s[8:9], -v[238:239]
	v_fma_f64 v[218:219], v[155:156], s[2:3], -v[218:219]
	v_add_f64 v[216:217], v[240:241], v[216:217]
	v_mul_f64 v[240:241], v[147:148], s[34:35]
	v_fma_f64 v[246:247], v[157:158], s[22:23], v[242:243]
	v_add_f64 v[230:231], v[244:245], v[230:231]
	v_mul_f64 v[244:245], v[181:182], s[34:35]
	v_fma_f64 v[248:249], v[173:174], s[22:23], -v[236:237]
	v_fma_f64 v[228:229], v[151:152], s[16:17], -v[228:229]
	v_add_f64 v[218:219], v[82:83], v[218:219]
	v_add_f64 v[214:215], v[214:215], v[216:217]
	v_fma_f64 v[216:217], v[143:144], s[28:29], v[240:241]
	v_fma_f64 v[234:235], v[153:154], s[8:9], -v[234:235]
	v_add_f64 v[230:231], v[246:247], v[230:231]
	v_mul_f64 v[246:247], v[183:184], s[26:27]
	v_fma_f64 v[252:253], v[171:172], s[28:29], -v[244:245]
	v_mul_f64 v[250:251], v[145:146], s[26:27]
	v_add_f64 v[218:219], v[228:229], v[218:219]
	v_add_f64 v[214:215], v[248:249], v[214:215]
	v_fma_f64 v[220:221], v[177:178], s[28:29], v[220:221]
	v_add_f64 v[210:211], v[226:227], v[210:211]
	v_add_f64 v[216:217], v[216:217], v[230:231]
	v_fma_f64 v[228:229], v[177:178], s[24:25], -v[246:247]
	v_fma_f64 v[230:231], v[157:158], s[22:23], -v[242:243]
	v_fma_f64 v[226:227], v[141:142], s[24:25], v[250:251]
	v_add_f64 v[218:219], v[234:235], v[218:219]
	v_add_f64 v[214:215], v[252:253], v[214:215]
	;; [unrolled: 1-line block ×4, first 2 shown]
	v_fma_f64 v[220:221], v[163:164], s[2:3], v[224:225]
	v_fma_f64 v[222:223], v[143:144], s[28:29], -v[240:241]
	v_mul_f64 v[224:225], v[187:188], s[34:35]
	v_add_f64 v[216:217], v[226:227], v[216:217]
	v_add_f64 v[218:219], v[230:231], v[218:219]
	;; [unrolled: 1-line block ×3, first 2 shown]
	v_mul_f64 v[228:229], v[167:168], s[34:35]
	v_fma_f64 v[226:227], v[161:162], s[16:17], v[232:233]
	v_add_f64 v[220:221], v[80:81], v[220:221]
	v_mul_f64 v[232:233], v[185:186], s[10:11]
	v_fma_f64 v[234:235], v[155:156], s[28:29], v[224:225]
	v_fma_f64 v[230:231], v[141:142], s[24:25], -v[250:251]
	v_add_f64 v[218:219], v[222:223], v[218:219]
	v_fma_f64 v[222:223], v[175:176], s[8:9], v[238:239]
	v_mul_f64 v[238:239], v[165:166], s[10:11]
	v_fma_f64 v[240:241], v[163:164], s[28:29], -v[228:229]
	v_add_f64 v[220:221], v[226:227], v[220:221]
	v_mul_f64 v[226:227], v[159:160], s[18:19]
	v_fma_f64 v[242:243], v[151:152], s[8:9], v[232:233]
	v_add_f64 v[234:235], v[82:83], v[234:235]
	v_mul_f64 v[248:249], v[169:170], s[18:19]
	v_add_f64 v[86:87], v[82:83], v[86:87]
	v_fma_f64 v[250:251], v[161:162], s[8:9], -v[238:239]
	v_add_f64 v[240:241], v[80:81], v[240:241]
	v_add_f64 v[84:85], v[80:81], v[84:85]
	v_fma_f64 v[252:253], v[153:154], s[16:17], v[226:227]
	v_add_f64 v[220:221], v[222:223], v[220:221]
	v_add_f64 v[234:235], v[242:243], v[234:235]
	v_fma_f64 v[242:243], v[171:172], s[28:29], v[244:245]
	v_mul_f64 v[244:245], v[179:180], s[40:41]
	v_fma_f64 v[254:255], v[175:176], s[16:17], -v[248:249]
	v_add_f64 v[240:241], v[250:251], v[240:241]
	v_mul_f64 v[222:223], v[149:150], s[40:41]
	v_add_f64 v[86:87], v[98:99], v[86:87]
	v_add_f64 v[84:85], v[96:97], v[84:85]
	;; [unrolled: 1-line block ×3, first 2 shown]
	v_mul_f64 v[252:253], v[181:182], s[30:31]
	v_mov_b32_e32 v140, v192
	v_mov_b32_e32 v198, v193
	v_fma_f64 v[192:193], v[173:174], s[24:25], -v[244:245]
	v_add_f64 v[240:241], v[254:255], v[240:241]
	v_fma_f64 v[250:251], v[157:158], s[24:25], v[222:223]
	v_add_f64 v[86:87], v[90:91], v[86:87]
	v_add_f64 v[84:85], v[88:89], v[84:85]
	v_fma_f64 v[196:197], v[171:172], s[2:3], -v[252:253]
	v_fma_f64 v[224:225], v[155:156], s[28:29], -v[224:225]
	v_mul_f64 v[254:255], v[145:146], s[20:21]
	v_fma_f64 v[232:233], v[151:152], s[8:9], -v[232:233]
	v_add_f64 v[192:193], v[192:193], v[240:241]
	v_add_f64 v[234:235], v[250:251], v[234:235]
	v_mul_f64 v[250:251], v[183:184], s[20:21]
	s_mov_b32 s21, 0xbfddbe06
	v_add_f64 v[86:87], v[106:107], v[86:87]
	v_add_f64 v[104:105], v[104:105], v[84:85]
	;; [unrolled: 1-line block ×3, first 2 shown]
	v_mul_f64 v[187:188], v[187:188], s[20:21]
	v_add_f64 v[192:193], v[196:197], v[192:193]
	v_fma_f64 v[196:197], v[163:164], s[28:29], v[228:229]
	v_fma_f64 v[236:237], v[173:174], s[22:23], v[236:237]
	v_fma_f64 v[226:227], v[153:154], s[16:17], -v[226:227]
	v_add_f64 v[86:87], v[94:95], v[86:87]
	v_add_f64 v[92:93], v[92:93], v[104:105]
	;; [unrolled: 1-line block ×3, first 2 shown]
	v_fma_f64 v[232:233], v[161:162], s[8:9], v[238:239]
	v_mul_f64 v[185:186], v[185:186], s[34:35]
	v_add_f64 v[196:197], v[80:81], v[196:197]
	v_fma_f64 v[238:239], v[155:156], s[22:23], v[187:188]
	v_mul_f64 v[94:95], v[167:168], s[20:21]
	v_add_f64 v[86:87], v[114:115], v[86:87]
	v_add_f64 v[92:93], v[112:113], v[92:93]
	;; [unrolled: 1-line block ×3, first 2 shown]
	v_mul_f64 v[236:237], v[147:148], s[30:31]
	v_fma_f64 v[222:223], v[157:158], s[24:25], -v[222:223]
	v_add_f64 v[224:225], v[226:227], v[224:225]
	v_fma_f64 v[226:227], v[175:176], s[16:17], v[248:249]
	v_add_f64 v[196:197], v[232:233], v[196:197]
	v_mul_f64 v[159:160], v[159:160], s[36:37]
	v_fma_f64 v[232:233], v[151:152], s[28:29], v[185:186]
	v_add_f64 v[238:239], v[82:83], v[238:239]
	v_fma_f64 v[155:156], v[155:156], s[22:23], -v[187:188]
	v_mul_f64 v[165:166], v[165:166], s[34:35]
	v_fma_f64 v[112:113], v[163:164], s[22:23], v[94:95]
	v_fma_f64 v[94:95], v[163:164], s[22:23], -v[94:95]
	v_add_f64 v[86:87], v[102:103], v[86:87]
	v_add_f64 v[92:93], v[100:101], v[92:93]
	v_fma_f64 v[200:201], v[143:144], s[2:3], v[236:237]
	v_fma_f64 v[236:237], v[143:144], s[2:3], -v[236:237]
	v_add_f64 v[96:97], v[222:223], v[224:225]
	v_fma_f64 v[98:99], v[173:174], s[24:25], v[244:245]
	v_add_f64 v[196:197], v[226:227], v[196:197]
	v_mul_f64 v[149:150], v[149:150], s[10:11]
	v_fma_f64 v[222:223], v[153:154], s[2:3], v[159:160]
	v_add_f64 v[224:225], v[232:233], v[238:239]
	v_mul_f64 v[114:115], v[169:170], s[36:37]
	v_fma_f64 v[151:152], v[151:152], s[28:29], -v[185:186]
	v_add_f64 v[82:83], v[82:83], v[155:156]
	v_fma_f64 v[155:156], v[161:162], s[28:29], v[165:166]
	v_add_f64 v[100:101], v[80:81], v[112:113]
	v_fma_f64 v[102:103], v[161:162], s[28:29], -v[165:166]
	v_add_f64 v[80:81], v[80:81], v[94:95]
	v_add_f64 v[86:87], v[122:123], v[86:87]
	;; [unrolled: 1-line block ×3, first 2 shown]
	v_fma_f64 v[228:229], v[141:142], s[22:23], -v[254:255]
	v_add_f64 v[88:89], v[236:237], v[96:97]
	v_add_f64 v[96:97], v[98:99], v[196:197]
	v_mul_f64 v[98:99], v[147:148], s[26:27]
	v_fma_f64 v[147:148], v[157:158], s[8:9], v[149:150]
	v_add_f64 v[196:197], v[222:223], v[224:225]
	v_mul_f64 v[167:168], v[179:180], s[10:11]
	v_fma_f64 v[94:95], v[153:154], s[2:3], -v[159:160]
	v_add_f64 v[82:83], v[151:152], v[82:83]
	v_fma_f64 v[112:113], v[175:176], s[2:3], v[114:115]
	v_add_f64 v[100:101], v[155:156], v[100:101]
	v_fma_f64 v[114:115], v[175:176], s[2:3], -v[114:115]
	v_add_f64 v[80:81], v[102:103], v[80:81]
	v_add_f64 v[86:87], v[110:111], v[86:87]
	;; [unrolled: 1-line block ×3, first 2 shown]
	v_fma_f64 v[90:91], v[171:172], s[2:3], v[252:253]
	v_add_f64 v[84:85], v[228:229], v[88:89]
	v_mul_f64 v[88:89], v[145:146], s[18:19]
	v_add_f64 v[145:146], v[147:148], v[196:197]
	v_mul_f64 v[147:148], v[181:182], s[26:27]
	v_fma_f64 v[102:103], v[157:158], s[8:9], -v[149:150]
	v_add_f64 v[82:83], v[94:95], v[82:83]
	v_fma_f64 v[94:95], v[173:174], s[8:9], v[167:168]
	v_add_f64 v[100:101], v[112:113], v[100:101]
	v_fma_f64 v[108:109], v[173:174], s[8:9], -v[167:168]
	v_add_f64 v[80:81], v[114:115], v[80:81]
	v_add_f64 v[86:87], v[126:127], v[86:87]
	;; [unrolled: 1-line block ×4, first 2 shown]
	v_fma_f64 v[96:97], v[143:144], s[24:25], v[98:99]
	v_mul_f64 v[104:105], v[183:184], s[18:19]
	v_fma_f64 v[98:99], v[143:144], s[24:25], -v[98:99]
	v_add_f64 v[82:83], v[102:103], v[82:83]
	v_fma_f64 v[102:103], v[171:172], s[24:25], v[147:148]
	v_add_f64 v[94:95], v[94:95], v[100:101]
	v_fma_f64 v[100:101], v[171:172], s[24:25], -v[147:148]
	v_add_f64 v[80:81], v[108:109], v[80:81]
	v_add_f64 v[86:87], v[118:119], v[86:87]
	;; [unrolled: 1-line block ×3, first 2 shown]
	v_fma_f64 v[108:109], v[141:142], s[16:17], -v[88:89]
	v_add_f64 v[82:83], v[98:99], v[82:83]
	v_fma_f64 v[98:99], v[177:178], s[16:17], v[104:105]
	v_add_f64 v[94:95], v[102:103], v[94:95]
	v_fma_f64 v[106:107], v[177:178], s[22:23], v[250:251]
	v_fma_f64 v[246:247], v[177:178], s[24:25], v[246:247]
	v_add_f64 v[242:243], v[242:243], v[220:221]
	v_fma_f64 v[104:105], v[177:178], s[16:17], -v[104:105]
	v_add_f64 v[80:81], v[100:101], v[80:81]
	v_add_f64 v[2:3], v[2:3], v[86:87]
	;; [unrolled: 1-line block ×3, first 2 shown]
	v_fma_f64 v[102:103], v[141:142], s[16:17], v[88:89]
	v_add_f64 v[88:89], v[108:109], v[82:83]
	v_add_f64 v[86:87], v[98:99], v[94:95]
	;; [unrolled: 1-line block ×3, first 2 shown]
	v_fma_f64 v[234:235], v[177:178], s[22:23], -v[250:251]
	v_add_f64 v[82:83], v[106:107], v[90:91]
	v_add_f64 v[220:221], v[230:231], v[218:219]
	;; [unrolled: 1-line block ×4, first 2 shown]
	v_lshl_add_u32 v80, v191, 4, v198
	buffer_load_dword v154, off, s[48:51], 0 offset:8 ; 4-byte Folded Reload
	buffer_load_dword v155, off, s[48:51], 0 offset:12 ; 4-byte Folded Reload
	ds_write_b128 v80, v[0:3]
	ds_write_b128 v80, v[86:89] offset:16
	ds_write_b128 v80, v[82:85] offset:32
	;; [unrolled: 1-line block ×6, first 2 shown]
	buffer_load_dword v133, off, s[48:51], 0 offset:20 ; 4-byte Folded Reload
	buffer_load_dword v132, off, s[48:51], 0 offset:16 ; 4-byte Folded Reload
	ds_write_b128 v80, v[128:131] offset:112
	ds_write_b128 v80, v[136:139] offset:128
	;; [unrolled: 1-line block ×4, first 2 shown]
	v_fma_f64 v[230:231], v[141:142], s[22:23], v[254:255]
	v_add_f64 v[90:91], v[234:235], v[192:193]
	v_mov_b32_e32 v192, v140
	buffer_load_dword v140, off, s[48:51], 0 ; 4-byte Folded Reload
	buffer_load_dword v141, off, s[48:51], 0 offset:4 ; 4-byte Folded Reload
	v_add_f64 v[96:97], v[96:97], v[145:146]
	v_lshlrev_b32_e32 v153, 4, v189
	v_add_f64 v[92:93], v[230:231], v[200:201]
	v_add_f64 v[96:97], v[102:103], v[96:97]
	ds_write_b128 v80, v[90:93] offset:176
	ds_write_b128 v80, v[94:97] offset:192
.LBB0_13:
	s_or_b64 exec, exec, s[0:1]
	s_waitcnt lgkmcnt(0)
	; wave barrier
	s_waitcnt lgkmcnt(0)
	ds_read_b128 v[0:3], v194
	ds_read_b128 v[80:83], v194 offset:416
	ds_read_b128 v[84:87], v194 offset:2496
	;; [unrolled: 1-line block ×11, first 2 shown]
	s_waitcnt lgkmcnt(7)
	v_mul_f64 v[124:125], v[14:15], v[94:95]
	v_mul_f64 v[14:15], v[14:15], v[92:93]
	;; [unrolled: 1-line block ×4, first 2 shown]
	s_waitcnt lgkmcnt(3)
	v_mul_f64 v[128:129], v[18:19], v[110:111]
	v_mul_f64 v[18:19], v[18:19], v[108:109]
	;; [unrolled: 1-line block ×4, first 2 shown]
	v_fma_f64 v[92:93], v[12:13], v[92:93], v[124:125]
	v_fma_f64 v[12:13], v[12:13], v[94:95], -v[14:15]
	v_fma_f64 v[14:15], v[8:9], v[84:85], v[126:127]
	v_fma_f64 v[8:9], v[8:9], v[86:87], -v[10:11]
	;; [unrolled: 2-line block ×4, first 2 shown]
	v_mul_f64 v[22:23], v[6:7], v[90:91]
	v_mul_f64 v[6:7], v[6:7], v[88:89]
	s_waitcnt lgkmcnt(1)
	v_mul_f64 v[84:85], v[38:39], v[118:119]
	v_mul_f64 v[38:39], v[38:39], v[116:117]
	v_add_f64 v[86:87], v[2:3], -v[8:9]
	v_add_f64 v[8:9], v[12:13], -v[16:17]
	;; [unrolled: 1-line block ×4, first 2 shown]
	v_fma_f64 v[16:17], v[4:5], v[88:89], v[22:23]
	v_fma_f64 v[22:23], v[4:5], v[90:91], -v[6:7]
	v_fma_f64 v[84:85], v[36:37], v[116:117], v[84:85]
	v_fma_f64 v[36:37], v[36:37], v[118:119], -v[38:39]
	v_fma_f64 v[6:7], v[2:3], 2.0, -v[86:87]
	v_fma_f64 v[2:3], v[12:13], 2.0, -v[8:9]
	v_mul_f64 v[12:13], v[34:35], v[106:107]
	v_mul_f64 v[34:35], v[34:35], v[104:105]
	;; [unrolled: 1-line block ×4, first 2 shown]
	s_waitcnt lgkmcnt(0)
	v_mul_f64 v[88:89], v[26:27], v[122:123]
	v_mul_f64 v[26:27], v[26:27], v[120:121]
	v_fma_f64 v[4:5], v[0:1], 2.0, -v[14:15]
	v_fma_f64 v[0:1], v[92:93], 2.0, -v[10:11]
	v_fma_f64 v[12:13], v[32:33], v[104:105], v[12:13]
	v_fma_f64 v[32:33], v[32:33], v[106:107], -v[34:35]
	v_fma_f64 v[34:35], v[28:29], v[112:113], v[38:39]
	v_fma_f64 v[28:29], v[28:29], v[114:115], -v[30:31]
	;; [unrolled: 2-line block ×3, first 2 shown]
	v_add_f64 v[38:39], v[80:81], -v[16:17]
	v_add_f64 v[88:89], v[82:83], -v[22:23]
	;; [unrolled: 1-line block ×8, first 2 shown]
	v_fma_f64 v[34:35], v[80:81], 2.0, -v[38:39]
	v_fma_f64 v[36:37], v[82:83], 2.0, -v[88:89]
	;; [unrolled: 1-line block ×4, first 2 shown]
	v_add_f64 v[0:1], v[4:5], -v[0:1]
	v_add_f64 v[2:3], v[6:7], -v[2:3]
	v_fma_f64 v[80:81], v[96:97], 2.0, -v[84:85]
	v_fma_f64 v[82:83], v[98:99], 2.0, -v[90:91]
	;; [unrolled: 1-line block ×4, first 2 shown]
	v_add_f64 v[8:9], v[14:15], v[8:9]
	v_add_f64 v[10:11], v[86:87], -v[10:11]
	v_add_f64 v[16:17], v[34:35], -v[16:17]
	;; [unrolled: 1-line block ×3, first 2 shown]
	v_add_f64 v[20:21], v[38:39], v[26:27]
	v_add_f64 v[22:23], v[88:89], -v[22:23]
	v_fma_f64 v[4:5], v[4:5], 2.0, -v[0:1]
	v_fma_f64 v[6:7], v[6:7], 2.0, -v[2:3]
	v_add_f64 v[24:25], v[80:81], -v[24:25]
	v_add_f64 v[26:27], v[82:83], -v[32:33]
	v_add_f64 v[28:29], v[84:85], v[28:29]
	v_add_f64 v[30:31], v[90:91], -v[30:31]
	v_fma_f64 v[12:13], v[14:15], 2.0, -v[8:9]
	v_fma_f64 v[14:15], v[86:87], 2.0, -v[10:11]
	;; [unrolled: 1-line block ×10, first 2 shown]
	s_waitcnt lgkmcnt(0)
	; wave barrier
	s_waitcnt vmcnt(5)
	ds_write_b128 v154, v[4:7]
	ds_write_b128 v154, v[12:15] offset:208
	ds_write_b128 v154, v[0:3] offset:416
	;; [unrolled: 1-line block ×3, first 2 shown]
	s_waitcnt vmcnt(4)
	ds_write_b128 v155, v[32:35]
	ds_write_b128 v155, v[36:39] offset:208
	ds_write_b128 v155, v[16:19] offset:416
	;; [unrolled: 1-line block ×3, first 2 shown]
	ds_write_b128 v199, v[80:83]
	ds_write_b128 v199, v[84:87] offset:208
	ds_write_b128 v199, v[24:27] offset:416
	;; [unrolled: 1-line block ×3, first 2 shown]
	s_waitcnt lgkmcnt(0)
	; wave barrier
	s_waitcnt lgkmcnt(0)
	ds_read_b128 v[0:3], v194 offset:1664
	ds_read_b128 v[4:7], v194
	ds_read_b128 v[8:11], v194 offset:416
	ds_read_b128 v[12:15], v194 offset:2080
	;; [unrolled: 1-line block ×4, first 2 shown]
	s_waitcnt lgkmcnt(5)
	v_mul_f64 v[88:89], v[46:47], v[2:3]
	v_mul_f64 v[90:91], v[46:47], v[0:1]
	ds_read_b128 v[24:27], v194 offset:832
	ds_read_b128 v[28:31], v194 offset:1248
	s_waitcnt lgkmcnt(3)
	v_mul_f64 v[92:93], v[42:43], v[18:19]
	ds_read_b128 v[32:35], v194 offset:2496
	ds_read_b128 v[36:39], v194 offset:2912
	;; [unrolled: 1-line block ×4, first 2 shown]
	v_mul_f64 v[94:95], v[54:55], v[12:13]
	s_waitcnt lgkmcnt(6)
	v_mul_f64 v[96:97], v[50:51], v[22:23]
	v_fma_f64 v[88:89], v[44:45], v[0:1], v[88:89]
	v_mul_f64 v[0:1], v[42:43], v[16:17]
	v_fma_f64 v[2:3], v[44:45], v[2:3], -v[90:91]
	v_mul_f64 v[90:91], v[54:55], v[14:15]
	v_fma_f64 v[16:17], v[40:41], v[16:17], v[92:93]
	v_mul_f64 v[92:93], v[50:51], v[20:21]
	s_waitcnt lgkmcnt(3)
	v_mul_f64 v[98:99], v[46:47], v[34:35]
	v_fma_f64 v[20:21], v[48:49], v[20:21], v[96:97]
	s_mov_b32 s0, 0xe8584caa
	v_fma_f64 v[18:19], v[40:41], v[18:19], -v[0:1]
	v_mul_f64 v[0:1], v[46:47], v[32:33]
	v_fma_f64 v[46:47], v[52:53], v[12:13], v[90:91]
	s_waitcnt lgkmcnt(1)
	v_mul_f64 v[12:13], v[42:43], v[82:83]
	v_fma_f64 v[90:91], v[52:53], v[14:15], -v[94:95]
	v_fma_f64 v[22:23], v[48:49], v[22:23], -v[92:93]
	v_fma_f64 v[92:93], v[44:45], v[32:33], v[98:99]
	v_mul_f64 v[14:15], v[42:43], v[80:81]
	v_mul_f64 v[32:33], v[54:55], v[36:37]
	v_fma_f64 v[34:35], v[44:45], v[34:35], -v[0:1]
	v_mul_f64 v[0:1], v[54:55], v[38:39]
	v_add_f64 v[42:43], v[88:89], v[16:17]
	v_fma_f64 v[44:45], v[40:41], v[80:81], v[12:13]
	s_waitcnt lgkmcnt(0)
	v_mul_f64 v[12:13], v[50:51], v[86:87]
	v_mul_f64 v[50:51], v[50:51], v[84:85]
	v_fma_f64 v[40:41], v[40:41], v[82:83], -v[14:15]
	v_add_f64 v[14:15], v[4:5], v[88:89]
	v_fma_f64 v[38:39], v[52:53], v[38:39], -v[32:33]
	v_fma_f64 v[54:55], v[52:53], v[36:37], v[0:1]
	v_fma_f64 v[32:33], v[42:43], -0.5, v[4:5]
	v_add_f64 v[36:37], v[2:3], -v[18:19]
	v_fma_f64 v[42:43], v[48:49], v[84:85], v[12:13]
	v_add_f64 v[12:13], v[2:3], v[18:19]
	v_add_f64 v[2:3], v[6:7], v[2:3]
	v_fma_f64 v[48:49], v[48:49], v[86:87], -v[50:51]
	v_add_f64 v[0:1], v[14:15], v[16:17]
	v_add_f64 v[14:15], v[46:47], v[20:21]
	v_add_f64 v[16:17], v[88:89], -v[16:17]
	s_mov_b32 s1, 0xbfebb67a
	s_mov_b32 s3, 0x3febb67a
	v_fma_f64 v[50:51], v[12:13], -0.5, v[6:7]
	v_add_f64 v[2:3], v[2:3], v[18:19]
	v_add_f64 v[18:19], v[90:91], v[22:23]
	s_mov_b32 s2, s0
	v_fma_f64 v[4:5], v[36:37], s[0:1], v[32:33]
	v_fma_f64 v[12:13], v[36:37], s[2:3], v[32:33]
	v_add_f64 v[32:33], v[8:9], v[46:47]
	v_fma_f64 v[36:37], v[14:15], -0.5, v[8:9]
	v_add_f64 v[52:53], v[90:91], -v[22:23]
	v_fma_f64 v[6:7], v[16:17], s[2:3], v[50:51]
	v_add_f64 v[80:81], v[92:93], v[44:45]
	v_fma_f64 v[14:15], v[16:17], s[0:1], v[50:51]
	v_add_f64 v[50:51], v[10:11], v[90:91]
	v_fma_f64 v[82:83], v[18:19], -0.5, v[10:11]
	v_add_f64 v[46:47], v[46:47], -v[20:21]
	v_add_f64 v[8:9], v[32:33], v[20:21]
	v_fma_f64 v[16:17], v[52:53], s[0:1], v[36:37]
	v_add_f64 v[32:33], v[24:25], v[92:93]
	v_fma_f64 v[80:81], v[80:81], -0.5, v[24:25]
	v_add_f64 v[84:85], v[34:35], -v[40:41]
	v_fma_f64 v[20:21], v[52:53], s[2:3], v[36:37]
	v_add_f64 v[10:11], v[50:51], v[22:23]
	v_fma_f64 v[18:19], v[46:47], s[2:3], v[82:83]
	v_add_f64 v[50:51], v[34:35], v[40:41]
	;; [unrolled: 2-line block ×3, first 2 shown]
	v_add_f64 v[52:53], v[38:39], v[48:49]
	v_add_f64 v[34:35], v[26:27], v[34:35]
	;; [unrolled: 1-line block ×3, first 2 shown]
	v_fma_f64 v[32:33], v[84:85], s[0:1], v[80:81]
	v_fma_f64 v[36:37], v[84:85], s[2:3], v[80:81]
	v_fma_f64 v[50:51], v[50:51], -0.5, v[26:27]
	v_add_f64 v[44:45], v[92:93], -v[44:45]
	v_add_f64 v[80:81], v[28:29], v[54:55]
	v_fma_f64 v[46:47], v[46:47], -0.5, v[28:29]
	v_add_f64 v[82:83], v[38:39], -v[48:49]
	v_add_f64 v[84:85], v[30:31], v[38:39]
	v_fma_f64 v[52:53], v[52:53], -0.5, v[30:31]
	v_add_f64 v[54:55], v[54:55], -v[42:43]
	v_add_f64 v[26:27], v[34:35], v[40:41]
	v_fma_f64 v[34:35], v[44:45], s[2:3], v[50:51]
	v_fma_f64 v[38:39], v[44:45], s[0:1], v[50:51]
	v_add_f64 v[28:29], v[80:81], v[42:43]
	v_fma_f64 v[40:41], v[82:83], s[0:1], v[46:47]
	v_fma_f64 v[44:45], v[82:83], s[2:3], v[46:47]
	v_add_f64 v[30:31], v[84:85], v[48:49]
	v_fma_f64 v[42:43], v[54:55], s[2:3], v[52:53]
	v_fma_f64 v[46:47], v[54:55], s[0:1], v[52:53]
	s_waitcnt lgkmcnt(0)
	; wave barrier
	ds_write_b128 v194, v[0:3]
	ds_write_b128 v194, v[4:7] offset:832
	ds_write_b128 v194, v[12:15] offset:1664
	;; [unrolled: 1-line block ×11, first 2 shown]
	s_waitcnt lgkmcnt(0)
	; wave barrier
	s_waitcnt lgkmcnt(0)
	ds_read_b128 v[0:3], v194
	ds_read_b128 v[4:7], v194 offset:416
	ds_read_b128 v[8:11], v194 offset:2496
	;; [unrolled: 1-line block ×11, first 2 shown]
	s_waitcnt lgkmcnt(9)
	v_mul_f64 v[48:49], v[58:59], v[10:11]
	v_mul_f64 v[50:51], v[58:59], v[8:9]
	s_waitcnt lgkmcnt(8)
	v_mul_f64 v[52:53], v[62:63], v[14:15]
	v_mul_f64 v[54:55], v[62:63], v[12:13]
	s_waitcnt lgkmcnt(5)
	v_mul_f64 v[58:59], v[70:71], v[26:27]
	v_mul_f64 v[62:63], v[70:71], v[24:25]
	s_waitcnt lgkmcnt(4)
	v_mul_f64 v[70:71], v[74:75], v[30:31]
	v_mul_f64 v[74:75], v[74:75], v[28:29]
	v_fma_f64 v[8:9], v[56:57], v[8:9], v[48:49]
	v_fma_f64 v[10:11], v[56:57], v[10:11], -v[50:51]
	v_fma_f64 v[12:13], v[60:61], v[12:13], v[52:53]
	v_fma_f64 v[14:15], v[60:61], v[14:15], -v[54:55]
	s_waitcnt lgkmcnt(1)
	v_mul_f64 v[48:49], v[66:67], v[42:43]
	v_mul_f64 v[50:51], v[66:67], v[40:41]
	s_waitcnt lgkmcnt(0)
	v_mul_f64 v[52:53], v[78:79], v[46:47]
	v_mul_f64 v[54:55], v[78:79], v[44:45]
	v_fma_f64 v[24:25], v[68:69], v[24:25], v[58:59]
	v_fma_f64 v[26:27], v[68:69], v[26:27], -v[62:63]
	v_fma_f64 v[28:29], v[72:73], v[28:29], v[70:71]
	v_fma_f64 v[30:31], v[72:73], v[30:31], -v[74:75]
	v_add_f64 v[8:9], v[0:1], -v[8:9]
	v_add_f64 v[10:11], v[2:3], -v[10:11]
	v_fma_f64 v[40:41], v[64:65], v[40:41], v[48:49]
	v_fma_f64 v[42:43], v[64:65], v[42:43], -v[50:51]
	v_fma_f64 v[44:45], v[76:77], v[44:45], v[52:53]
	v_fma_f64 v[46:47], v[76:77], v[46:47], -v[54:55]
	v_add_f64 v[12:13], v[4:5], -v[12:13]
	v_add_f64 v[14:15], v[6:7], -v[14:15]
	;; [unrolled: 1-line block ×6, first 2 shown]
	v_fma_f64 v[0:1], v[0:1], 2.0, -v[8:9]
	v_fma_f64 v[2:3], v[2:3], 2.0, -v[10:11]
	v_add_f64 v[40:41], v[32:33], -v[40:41]
	v_add_f64 v[42:43], v[34:35], -v[42:43]
	;; [unrolled: 1-line block ×4, first 2 shown]
	v_fma_f64 v[4:5], v[4:5], 2.0, -v[12:13]
	v_fma_f64 v[6:7], v[6:7], 2.0, -v[14:15]
	;; [unrolled: 1-line block ×10, first 2 shown]
	ds_write_b128 v195, v[0:3]
	ds_write_b128 v195, v[8:11] offset:2496
	ds_write_b128 v195, v[4:7] offset:416
	;; [unrolled: 1-line block ×8, first 2 shown]
	s_waitcnt vmcnt(3)
	ds_write_b128 v133, v[40:43] offset:2496
	ds_write_b128 v195, v[36:39] offset:2080
	s_waitcnt vmcnt(2)
	ds_write_b128 v132, v[44:47] offset:2496
	s_waitcnt lgkmcnt(0)
	; wave barrier
	s_waitcnt lgkmcnt(0)
	s_and_b64 exec, exec, vcc
	s_cbranch_execz .LBB0_15
; %bb.14:
	global_load_dwordx4 v[0:3], v190, s[12:13]
	global_load_dwordx4 v[4:7], v190, s[12:13] offset:384
	global_load_dwordx4 v[8:11], v190, s[12:13] offset:768
	;; [unrolled: 1-line block ×10, first 2 shown]
	s_waitcnt vmcnt(12)
	v_mad_u64_u32 v[68:69], s[0:1], s6, v140, 0
	v_mad_u64_u32 v[70:71], s[2:3], s4, v189, 0
	v_or_b32_e32 v77, 0x60, v189
	v_mad_u64_u32 v[72:73], s[8:9], s4, v77, 0
	s_mul_i32 s3, s5, 0x180
	s_mul_hi_u32 s6, s4, 0x180
	s_add_i32 s3, s6, s3
	v_mad_u64_u32 v[74:75], s[6:7], s7, v140, v[69:70]
	v_mad_u64_u32 v[75:76], s[6:7], s5, v189, v[71:72]
	v_mov_b32_e32 v69, v73
	v_mad_u64_u32 v[76:77], s[6:7], s5, v77, v[69:70]
	v_mov_b32_e32 v69, v74
	v_mov_b32_e32 v44, s13
	v_add_co_u32_e32 v88, vcc, s12, v190
	v_lshlrev_b64 v[68:69], 4, v[68:69]
	v_addc_co_u32_e32 v89, vcc, 0, v44, vcc
	v_mov_b32_e32 v71, v75
	v_mov_b32_e32 v78, s15
	v_lshlrev_b64 v[70:71], 4, v[70:71]
	v_add_co_u32_e32 v75, vcc, s14, v68
	v_addc_co_u32_e32 v91, vcc, v78, v69, vcc
	v_lshl_add_u32 v87, v192, 4, v153
	ds_read_b128 v[44:47], v195
	ds_read_b128 v[48:51], v87 offset:384
	v_add_co_u32_e32 v68, vcc, v75, v70
	s_mul_i32 s2, s4, 0x180
	v_addc_co_u32_e32 v69, vcc, v91, v71, vcc
	ds_read_b128 v[52:55], v87 offset:768
	ds_read_b128 v[56:59], v87 offset:1152
	v_mov_b32_e32 v79, s3
	v_add_co_u32_e32 v70, vcc, s2, v68
	v_addc_co_u32_e32 v71, vcc, v69, v79, vcc
	v_mov_b32_e32 v80, s3
	v_add_co_u32_e32 v73, vcc, s2, v70
	v_addc_co_u32_e32 v74, vcc, v71, v80, vcc
	ds_read_b128 v[60:63], v87 offset:1536
	ds_read_b128 v[64:67], v87 offset:1920
	s_mov_b32 s0, 0x1a41a41a
	s_mov_b32 s1, 0x3f6a41a4
	v_mov_b32_e32 v90, s3
	s_movk_i32 s6, 0x1000
	s_mul_i32 s8, s5, 0x300
	s_waitcnt vmcnt(10) lgkmcnt(5)
	v_mul_f64 v[77:78], v[46:47], v[2:3]
	v_mul_f64 v[2:3], v[44:45], v[2:3]
	s_waitcnt vmcnt(9) lgkmcnt(4)
	v_mul_f64 v[79:80], v[50:51], v[6:7]
	v_mul_f64 v[6:7], v[48:49], v[6:7]
	;; [unrolled: 3-line block ×4, first 2 shown]
	v_fma_f64 v[44:45], v[44:45], v[0:1], v[77:78]
	v_fma_f64 v[2:3], v[0:1], v[46:47], -v[2:3]
	v_fma_f64 v[46:47], v[48:49], v[4:5], v[79:80]
	v_fma_f64 v[6:7], v[4:5], v[50:51], -v[6:7]
	;; [unrolled: 2-line block ×4, first 2 shown]
	v_mul_f64 v[0:1], v[44:45], s[0:1]
	v_mul_f64 v[2:3], v[2:3], s[0:1]
	s_waitcnt vmcnt(6) lgkmcnt(1)
	v_mul_f64 v[85:86], v[62:63], v[18:19]
	v_mul_f64 v[18:19], v[60:61], v[18:19]
	;; [unrolled: 1-line block ×8, first 2 shown]
	v_add_co_u32_e32 v44, vcc, s2, v73
	v_addc_co_u32_e32 v45, vcc, v74, v90, vcc
	global_store_dwordx4 v[68:69], v[0:3], off
	global_store_dwordx4 v[70:71], v[4:7], off
	;; [unrolled: 1-line block ×4, first 2 shown]
	v_add_co_u32_e32 v4, vcc, s6, v88
	v_fma_f64 v[52:53], v[60:61], v[16:17], v[85:86]
	v_fma_f64 v[16:17], v[16:17], v[62:63], -v[18:19]
	v_addc_co_u32_e32 v5, vcc, 0, v89, vcc
	global_load_dwordx4 v[4:7], v[4:5], off offset:128
	v_or_b32_e32 v54, 0x120, v189
	s_waitcnt vmcnt(10) lgkmcnt(0)
	v_mul_f64 v[12:13], v[66:67], v[22:23]
	v_mul_f64 v[14:15], v[64:65], v[22:23]
	ds_read_b128 v[8:11], v87 offset:2304
	v_mul_f64 v[2:3], v[16:17], s[0:1]
	v_lshlrev_b32_e32 v16, 4, v54
	global_load_dwordx4 v[16:19], v16, s[12:13]
	v_mul_f64 v[0:1], v[52:53], s[0:1]
	v_mov_b32_e32 v73, v76
	v_fma_f64 v[46:47], v[64:65], v[20:21], v[12:13]
	v_fma_f64 v[48:49], v[20:21], v[66:67], -v[14:15]
	ds_read_b128 v[12:15], v87 offset:2688
	s_waitcnt vmcnt(10) lgkmcnt(1)
	v_mul_f64 v[50:51], v[10:11], v[26:27]
	v_mul_f64 v[26:27], v[8:9], v[26:27]
	v_lshlrev_b64 v[22:23], 4, v[72:73]
	v_add_co_u32_e32 v52, vcc, v75, v22
	v_addc_co_u32_e32 v53, vcc, v91, v23, vcc
	v_fma_f64 v[8:9], v[8:9], v[24:25], v[50:51]
	v_fma_f64 v[10:11], v[24:25], v[10:11], -v[26:27]
	s_waitcnt vmcnt(9) lgkmcnt(0)
	v_mul_f64 v[24:25], v[14:15], v[30:31]
	v_mul_f64 v[26:27], v[12:13], v[30:31]
	v_mul_f64 v[20:21], v[46:47], s[0:1]
	v_mul_f64 v[22:23], v[48:49], s[0:1]
	v_mov_b32_e32 v46, 0x300
	global_store_dwordx4 v[52:53], v[0:3], off
	v_mad_u64_u32 v[44:45], s[6:7], s4, v46, v[44:45]
	v_mul_f64 v[0:1], v[8:9], s[0:1]
	v_mul_f64 v[2:3], v[10:11], s[0:1]
	v_fma_f64 v[8:9], v[12:13], v[28:29], v[24:25]
	v_add_u32_e32 v45, s8, v45
	v_fma_f64 v[12:13], v[28:29], v[14:15], -v[26:27]
	global_store_dwordx4 v[44:45], v[20:23], off
	v_mov_b32_e32 v10, s3
	v_add_co_u32_e32 v20, vcc, s2, v44
	v_addc_co_u32_e32 v21, vcc, v45, v10, vcc
	global_store_dwordx4 v[20:21], v[0:3], off
	v_or_b32_e32 v30, 0xc0, v189
	v_mul_f64 v[0:1], v[8:9], s[0:1]
	ds_read_b128 v[8:11], v87 offset:3072
	v_mul_f64 v[2:3], v[12:13], s[0:1]
	ds_read_b128 v[12:15], v87 offset:3456
	v_mad_u64_u32 v[26:27], s[6:7], s4, v30, 0
	s_waitcnt vmcnt(11) lgkmcnt(1)
	v_mul_f64 v[22:23], v[10:11], v[34:35]
	v_mul_f64 v[24:25], v[8:9], v[34:35]
	v_mov_b32_e32 v29, s3
	v_add_co_u32_e32 v28, vcc, s2, v20
	v_mov_b32_e32 v20, v27
	v_addc_co_u32_e32 v29, vcc, v21, v29, vcc
	v_fma_f64 v[8:9], v[8:9], v[32:33], v[22:23]
	v_fma_f64 v[10:11], v[32:33], v[10:11], -v[24:25]
	v_mad_u64_u32 v[20:21], s[6:7], s5, v30, v[20:21]
	s_waitcnt vmcnt(10) lgkmcnt(0)
	v_mul_f64 v[21:22], v[14:15], v[38:39]
	v_mul_f64 v[23:24], v[12:13], v[38:39]
	global_store_dwordx4 v[28:29], v[0:3], off
	v_mov_b32_e32 v27, v20
	v_mul_f64 v[0:1], v[8:9], s[0:1]
	v_mul_f64 v[2:3], v[10:11], s[0:1]
	ds_read_b128 v[8:11], v87 offset:3840
	v_lshlrev_b64 v[25:26], 4, v[26:27]
	v_fma_f64 v[20:21], v[12:13], v[36:37], v[21:22]
	v_fma_f64 v[22:23], v[36:37], v[14:15], -v[23:24]
	ds_read_b128 v[12:15], v87 offset:4224
	s_waitcnt vmcnt(10) lgkmcnt(1)
	v_mul_f64 v[30:31], v[10:11], v[42:43]
	v_mul_f64 v[32:33], v[8:9], v[42:43]
	v_add_co_u32_e32 v24, vcc, v75, v25
	v_addc_co_u32_e32 v25, vcc, v91, v26, vcc
	v_mad_u64_u32 v[26:27], s[6:7], s4, v46, v[28:29]
	v_fma_f64 v[8:9], v[8:9], v[40:41], v[30:31]
	v_fma_f64 v[10:11], v[40:41], v[10:11], -v[32:33]
	global_store_dwordx4 v[24:25], v[0:3], off
	s_waitcnt vmcnt(6) lgkmcnt(0)
	v_mul_f64 v[24:25], v[14:15], v[6:7]
	v_mul_f64 v[28:29], v[12:13], v[6:7]
	;; [unrolled: 1-line block ×4, first 2 shown]
	v_add_u32_e32 v27, s8, v27
	v_mul_f64 v[0:1], v[8:9], s[0:1]
	ds_read_b128 v[6:9], v87 offset:4608
	v_mul_f64 v[2:3], v[10:11], s[0:1]
	v_fma_f64 v[10:11], v[12:13], v[4:5], v[24:25]
	v_fma_f64 v[4:5], v[4:5], v[14:15], -v[28:29]
	s_waitcnt vmcnt(5) lgkmcnt(0)
	v_mul_f64 v[12:13], v[8:9], v[18:19]
	v_mul_f64 v[14:15], v[6:7], v[18:19]
	global_store_dwordx4 v[26:27], v[20:23], off
	v_add_co_u32_e32 v18, vcc, s2, v26
	v_mov_b32_e32 v20, s3
	v_addc_co_u32_e32 v19, vcc, v27, v20, vcc
	global_store_dwordx4 v[18:19], v[0:3], off
	s_nop 0
	v_mul_f64 v[2:3], v[4:5], s[0:1]
	v_fma_f64 v[4:5], v[6:7], v[16:17], v[12:13]
	v_fma_f64 v[6:7], v[16:17], v[8:9], -v[14:15]
	v_mad_u64_u32 v[8:9], s[6:7], s4, v54, 0
	v_mul_f64 v[0:1], v[10:11], s[0:1]
	v_add_co_u32_e32 v10, vcc, s2, v18
	v_mov_b32_e32 v11, s3
	v_mad_u64_u32 v[12:13], s[2:3], s5, v54, v[9:10]
	v_mul_f64 v[4:5], v[4:5], s[0:1]
	v_mul_f64 v[6:7], v[6:7], s[0:1]
	v_addc_co_u32_e32 v11, vcc, v19, v11, vcc
	v_mov_b32_e32 v9, v12
	global_store_dwordx4 v[10:11], v[0:3], off
	s_nop 0
	v_lshlrev_b64 v[0:1], 4, v[8:9]
	v_add_co_u32_e32 v0, vcc, v75, v0
	v_addc_co_u32_e32 v1, vcc, v91, v1, vcc
	global_store_dwordx4 v[0:1], v[4:7], off
.LBB0_15:
	s_endpgm
	.section	.rodata,"a",@progbits
	.p2align	6, 0x0
	.amdhsa_kernel bluestein_single_back_len312_dim1_dp_op_CI_CI
		.amdhsa_group_segment_fixed_size 9984
		.amdhsa_private_segment_fixed_size 28
		.amdhsa_kernarg_size 104
		.amdhsa_user_sgpr_count 6
		.amdhsa_user_sgpr_private_segment_buffer 1
		.amdhsa_user_sgpr_dispatch_ptr 0
		.amdhsa_user_sgpr_queue_ptr 0
		.amdhsa_user_sgpr_kernarg_segment_ptr 1
		.amdhsa_user_sgpr_dispatch_id 0
		.amdhsa_user_sgpr_flat_scratch_init 0
		.amdhsa_user_sgpr_private_segment_size 0
		.amdhsa_uses_dynamic_stack 0
		.amdhsa_system_sgpr_private_segment_wavefront_offset 1
		.amdhsa_system_sgpr_workgroup_id_x 1
		.amdhsa_system_sgpr_workgroup_id_y 0
		.amdhsa_system_sgpr_workgroup_id_z 0
		.amdhsa_system_sgpr_workgroup_info 0
		.amdhsa_system_vgpr_workitem_id 0
		.amdhsa_next_free_vgpr 256
		.amdhsa_next_free_sgpr 52
		.amdhsa_reserve_vcc 1
		.amdhsa_reserve_flat_scratch 0
		.amdhsa_float_round_mode_32 0
		.amdhsa_float_round_mode_16_64 0
		.amdhsa_float_denorm_mode_32 3
		.amdhsa_float_denorm_mode_16_64 3
		.amdhsa_dx10_clamp 1
		.amdhsa_ieee_mode 1
		.amdhsa_fp16_overflow 0
		.amdhsa_exception_fp_ieee_invalid_op 0
		.amdhsa_exception_fp_denorm_src 0
		.amdhsa_exception_fp_ieee_div_zero 0
		.amdhsa_exception_fp_ieee_overflow 0
		.amdhsa_exception_fp_ieee_underflow 0
		.amdhsa_exception_fp_ieee_inexact 0
		.amdhsa_exception_int_div_zero 0
	.end_amdhsa_kernel
	.text
.Lfunc_end0:
	.size	bluestein_single_back_len312_dim1_dp_op_CI_CI, .Lfunc_end0-bluestein_single_back_len312_dim1_dp_op_CI_CI
                                        ; -- End function
	.section	.AMDGPU.csdata,"",@progbits
; Kernel info:
; codeLenInByte = 16964
; NumSgprs: 56
; NumVgprs: 256
; ScratchSize: 28
; MemoryBound: 0
; FloatMode: 240
; IeeeMode: 1
; LDSByteSize: 9984 bytes/workgroup (compile time only)
; SGPRBlocks: 6
; VGPRBlocks: 63
; NumSGPRsForWavesPerEU: 56
; NumVGPRsForWavesPerEU: 256
; Occupancy: 1
; WaveLimiterHint : 1
; COMPUTE_PGM_RSRC2:SCRATCH_EN: 1
; COMPUTE_PGM_RSRC2:USER_SGPR: 6
; COMPUTE_PGM_RSRC2:TRAP_HANDLER: 0
; COMPUTE_PGM_RSRC2:TGID_X_EN: 1
; COMPUTE_PGM_RSRC2:TGID_Y_EN: 0
; COMPUTE_PGM_RSRC2:TGID_Z_EN: 0
; COMPUTE_PGM_RSRC2:TIDIG_COMP_CNT: 0
	.type	__hip_cuid_afdabcd84a397812,@object ; @__hip_cuid_afdabcd84a397812
	.section	.bss,"aw",@nobits
	.globl	__hip_cuid_afdabcd84a397812
__hip_cuid_afdabcd84a397812:
	.byte	0                               ; 0x0
	.size	__hip_cuid_afdabcd84a397812, 1

	.ident	"AMD clang version 19.0.0git (https://github.com/RadeonOpenCompute/llvm-project roc-6.4.0 25133 c7fe45cf4b819c5991fe208aaa96edf142730f1d)"
	.section	".note.GNU-stack","",@progbits
	.addrsig
	.addrsig_sym __hip_cuid_afdabcd84a397812
	.amdgpu_metadata
---
amdhsa.kernels:
  - .args:
      - .actual_access:  read_only
        .address_space:  global
        .offset:         0
        .size:           8
        .value_kind:     global_buffer
      - .actual_access:  read_only
        .address_space:  global
        .offset:         8
        .size:           8
        .value_kind:     global_buffer
      - .actual_access:  read_only
        .address_space:  global
        .offset:         16
        .size:           8
        .value_kind:     global_buffer
      - .actual_access:  read_only
        .address_space:  global
        .offset:         24
        .size:           8
        .value_kind:     global_buffer
      - .actual_access:  read_only
        .address_space:  global
        .offset:         32
        .size:           8
        .value_kind:     global_buffer
      - .offset:         40
        .size:           8
        .value_kind:     by_value
      - .address_space:  global
        .offset:         48
        .size:           8
        .value_kind:     global_buffer
      - .address_space:  global
        .offset:         56
        .size:           8
        .value_kind:     global_buffer
      - .address_space:  global
        .offset:         64
        .size:           8
        .value_kind:     global_buffer
      - .address_space:  global
        .offset:         72
        .size:           8
        .value_kind:     global_buffer
      - .offset:         80
        .size:           4
        .value_kind:     by_value
      - .address_space:  global
        .offset:         88
        .size:           8
        .value_kind:     global_buffer
      - .address_space:  global
        .offset:         96
        .size:           8
        .value_kind:     global_buffer
    .group_segment_fixed_size: 9984
    .kernarg_segment_align: 8
    .kernarg_segment_size: 104
    .language:       OpenCL C
    .language_version:
      - 2
      - 0
    .max_flat_workgroup_size: 52
    .name:           bluestein_single_back_len312_dim1_dp_op_CI_CI
    .private_segment_fixed_size: 28
    .sgpr_count:     56
    .sgpr_spill_count: 0
    .symbol:         bluestein_single_back_len312_dim1_dp_op_CI_CI.kd
    .uniform_work_group_size: 1
    .uses_dynamic_stack: false
    .vgpr_count:     256
    .vgpr_spill_count: 6
    .wavefront_size: 64
amdhsa.target:   amdgcn-amd-amdhsa--gfx906
amdhsa.version:
  - 1
  - 2
...

	.end_amdgpu_metadata
